;; amdgpu-corpus repo=ROCm/rocSPARSE kind=compiled arch=gfx90a opt=O3
	.text
	.amdgcn_target "amdgcn-amd-amdhsa--gfx90a"
	.amdhsa_code_object_version 6
	.section	.text._ZN9rocsparseL23csric0_binsearch_kernelILj256ELj64ELb1EfEEviPKiS2_PT2_S2_PiS2_S5_S5_d21rocsparse_index_base_,"axG",@progbits,_ZN9rocsparseL23csric0_binsearch_kernelILj256ELj64ELb1EfEEviPKiS2_PT2_S2_PiS2_S5_S5_d21rocsparse_index_base_,comdat
	.globl	_ZN9rocsparseL23csric0_binsearch_kernelILj256ELj64ELb1EfEEviPKiS2_PT2_S2_PiS2_S5_S5_d21rocsparse_index_base_ ; -- Begin function _ZN9rocsparseL23csric0_binsearch_kernelILj256ELj64ELb1EfEEviPKiS2_PT2_S2_PiS2_S5_S5_d21rocsparse_index_base_
	.p2align	8
	.type	_ZN9rocsparseL23csric0_binsearch_kernelILj256ELj64ELb1EfEEviPKiS2_PT2_S2_PiS2_S5_S5_d21rocsparse_index_base_,@function
_ZN9rocsparseL23csric0_binsearch_kernelILj256ELj64ELb1EfEEviPKiS2_PT2_S2_PiS2_S5_S5_d21rocsparse_index_base_: ; @_ZN9rocsparseL23csric0_binsearch_kernelILj256ELj64ELb1EfEEviPKiS2_PT2_S2_PiS2_S5_S5_d21rocsparse_index_base_
; %bb.0:
	s_load_dword s0, s[4:5], 0x0
	s_lshl_b32 s1, s6, 2
	v_lshrrev_b32_e32 v1, 6, v0
	s_and_b32 s1, s1, 0x3fffffc
	v_or_b32_e32 v1, s1, v1
	s_waitcnt lgkmcnt(0)
	v_cmp_gt_i32_e32 vcc, s0, v1
	s_and_saveexec_b64 s[0:1], vcc
	s_cbranch_execz .LBB0_49
; %bb.1:
	s_load_dwordx8 s[8:15], s[4:5], 0x18
	v_lshlrev_b32_e32 v1, 2, v1
	v_and_b32_e32 v7, 63, v0
	s_waitcnt lgkmcnt(0)
	global_load_dword v4, v1, s[14:15]
	s_load_dwordx2 s[14:15], s[4:5], 0x8
	v_mov_b32_e32 v1, s11
	s_waitcnt lgkmcnt(0)
	v_mov_b32_e32 v6, s15
	s_waitcnt vmcnt(0)
	v_ashrrev_i32_e32 v5, 31, v4
	v_lshlrev_b64 v[2:3], 2, v[4:5]
	v_add_co_u32_e32 v10, vcc, s10, v2
	v_addc_co_u32_e32 v11, vcc, v1, v3, vcc
	v_add_co_u32_e32 v8, vcc, s14, v2
	v_addc_co_u32_e32 v9, vcc, v6, v3, vcc
	global_load_dword v1, v[8:9], off
	global_load_dword v6, v[10:11], off
	s_load_dword s33, s[4:5], 0x50
	s_load_dwordx4 s[16:19], s[4:5], 0x38
	s_load_dwordx2 s[6:7], s[4:5], 0x48
	v_mov_b32_e32 v5, 0
	s_waitcnt vmcnt(1) lgkmcnt(0)
	v_subrev_u32_e32 v18, s33, v1
	s_waitcnt vmcnt(0)
	v_cmp_lt_i32_e32 vcc, v18, v6
	s_and_saveexec_b64 s[20:21], vcc
	s_cbranch_execz .LBB0_36
; %bb.2:
	global_load_dword v0, v[8:9], off offset:4
	s_load_dwordx2 s[22:23], s[4:5], 0x10
	v_add_u32_e32 v19, -1, v6
	v_cmp_eq_u32_e64 s[0:1], 0, v7
	v_subrev_u32_e32 v20, s33, v7
	v_cmp_eq_u32_e64 s[2:3], 63, v7
	s_mov_b64 s[24:25], 0
	v_mov_b32_e32 v21, 0
	v_mov_b32_e32 v22, s9
	;; [unrolled: 1-line block ×6, first 2 shown]
	s_waitcnt lgkmcnt(0)
	v_mov_b32_e32 v26, s23
	s_waitcnt vmcnt(0)
	v_xad_u32 v27, s33, -1, v0
	v_mov_b32_e32 v0, v18
	s_branch .LBB0_5
.LBB0_3:                                ;   in Loop: Header=BB0_5 Depth=1
	s_or_b64 exec, exec, s[28:29]
.LBB0_4:                                ;   in Loop: Header=BB0_5 Depth=1
	s_or_b64 exec, exec, s[26:27]
	v_add_u32_e32 v0, 1, v0
	v_cmp_ge_i32_e32 vcc, v0, v6
	s_xor_b64 s[4:5], s[4:5], -1
	s_or_b64 s[4:5], s[4:5], vcc
	s_and_b64 s[4:5], exec, s[4:5]
	s_or_b64 s[24:25], s[4:5], s[24:25]
	s_andn2_b64 exec, exec, s[24:25]
	s_cbranch_execz .LBB0_35
.LBB0_5:                                ; =>This Loop Header: Depth=1
                                        ;     Child Loop BB0_8 Depth 2
                                        ;       Child Loop BB0_9 Depth 3
                                        ;     Child Loop BB0_13 Depth 2
                                        ;     Child Loop BB0_20 Depth 2
	;; [unrolled: 1-line block ×3, first 2 shown]
                                        ;       Child Loop BB0_28 Depth 3
	v_ashrrev_i32_e32 v1, 31, v0
	v_lshlrev_b64 v[8:9], 2, v[0:1]
	v_add_co_u32_e32 v10, vcc, s22, v8
	v_addc_co_u32_e32 v11, vcc, v26, v9, vcc
	global_load_dword v12, v[10:11], off
	v_add_co_u32_e32 v8, vcc, s8, v8
	v_addc_co_u32_e32 v9, vcc, v22, v9, vcc
	global_load_dword v1, v[8:9], off
	s_waitcnt vmcnt(1)
	v_subrev_u32_e32 v10, s33, v12
	v_ashrrev_i32_e32 v11, 31, v10
	v_lshlrev_b64 v[10:11], 2, v[10:11]
	v_add_co_u32_e32 v16, vcc, s14, v10
	v_addc_co_u32_e32 v17, vcc, v23, v11, vcc
	v_add_co_u32_e32 v28, vcc, s10, v10
	v_addc_co_u32_e32 v29, vcc, v24, v11, vcc
	;; [unrolled: 2-line block ×3, first 2 shown]
	global_load_dword v13, v[16:17], off
	global_load_dword v14, v[28:29], off
	global_load_dword v15, v[10:11], off glc
	s_waitcnt vmcnt(0)
	v_cmp_eq_u32_e32 vcc, 0, v15
	s_and_saveexec_b64 s[4:5], vcc
	s_cbranch_execz .LBB0_10
; %bb.6:                                ;   in Loop: Header=BB0_5 Depth=1
	s_mov_b32 s11, 0
	s_mov_b64 s[26:27], 0
	s_branch .LBB0_8
.LBB0_7:                                ;   in Loop: Header=BB0_8 Depth=2
	global_load_dword v15, v[10:11], off glc
	s_cmpk_lt_u32 s11, 0xf43
	s_cselect_b64 s[28:29], -1, 0
	s_cmp_lg_u64 s[28:29], 0
	s_addc_u32 s11, s11, 0
	s_waitcnt vmcnt(0)
	v_cmp_ne_u32_e32 vcc, 0, v15
	s_or_b64 s[26:27], vcc, s[26:27]
	s_andn2_b64 exec, exec, s[26:27]
	s_cbranch_execz .LBB0_10
.LBB0_8:                                ;   Parent Loop BB0_5 Depth=1
                                        ; =>  This Loop Header: Depth=2
                                        ;       Child Loop BB0_9 Depth 3
	s_cmp_eq_u32 s11, 0
	s_mov_b32 s15, s11
	s_cbranch_scc1 .LBB0_7
.LBB0_9:                                ;   Parent Loop BB0_5 Depth=1
                                        ;     Parent Loop BB0_8 Depth=2
                                        ; =>    This Inner Loop Header: Depth=3
	s_add_i32 s15, s15, -1
	s_cmp_eq_u32 s15, 0
	s_sleep 1
	s_cbranch_scc0 .LBB0_9
	s_branch .LBB0_7
.LBB0_10:                               ;   in Loop: Header=BB0_5 Depth=1
	s_or_b64 exec, exec, s[4:5]
	v_cmp_eq_u32_e32 vcc, -1, v14
	v_cndmask_b32_e32 v10, v14, v19, vcc
	v_ashrrev_i32_e32 v11, 31, v10
	v_lshlrev_b64 v[14:15], 2, v[10:11]
	v_add_co_u32_e32 v14, vcc, s8, v14
	v_addc_co_u32_e32 v15, vcc, v22, v15, vcc
	buffer_wbinvl1_vol
	global_load_dword v11, v[14:15], off
	s_waitcnt vmcnt(0)
	v_cmp_neq_f32_e64 s[4:5], 0, v11
	v_cmp_eq_f32_e32 vcc, 0, v11
	s_and_saveexec_b64 s[26:27], vcc
	s_xor_b64 s[26:27], exec, s[26:27]
	s_cbranch_execz .LBB0_17
; %bb.11:                               ;   in Loop: Header=BB0_5 Depth=1
	s_and_saveexec_b64 s[28:29], s[0:1]
	s_cbranch_execz .LBB0_16
; %bb.12:                               ;   in Loop: Header=BB0_5 Depth=1
	s_mov_b64 s[30:31], exec
	s_brev_b32 s11, -2
.LBB0_13:                               ;   Parent Loop BB0_5 Depth=1
                                        ; =>  This Inner Loop Header: Depth=2
	s_ff1_i32_b64 s15, s[30:31]
	v_readlane_b32 s36, v12, s15
	s_lshl_b64 s[34:35], 1, s15
	s_min_i32 s11, s11, s36
	s_andn2_b64 s[30:31], s[30:31], s[34:35]
	s_cmp_lg_u64 s[30:31], 0
	s_cbranch_scc1 .LBB0_13
; %bb.14:                               ;   in Loop: Header=BB0_5 Depth=1
	v_mbcnt_lo_u32_b32 v1, exec_lo, 0
	v_mbcnt_hi_u32_b32 v1, exec_hi, v1
	v_cmp_eq_u32_e32 vcc, 0, v1
	s_and_saveexec_b64 s[30:31], vcc
	s_xor_b64 s[30:31], exec, s[30:31]
	s_cbranch_execz .LBB0_16
; %bb.15:                               ;   in Loop: Header=BB0_5 Depth=1
	v_mov_b32_e32 v1, s11
	global_atomic_smin v21, v1, s[16:17]
.LBB0_16:                               ;   in Loop: Header=BB0_5 Depth=1
	s_or_b64 exec, exec, s[28:29]
                                        ; implicit-def: $vgpr11
                                        ; implicit-def: $vgpr1
                                        ; implicit-def: $vgpr8_vgpr9
                                        ; implicit-def: $vgpr13
                                        ; implicit-def: $vgpr10
                                        ; implicit-def: $vgpr12
.LBB0_17:                               ;   in Loop: Header=BB0_5 Depth=1
	s_andn2_saveexec_b64 s[26:27], s[26:27]
	s_cbranch_execz .LBB0_4
; %bb.18:                               ;   in Loop: Header=BB0_5 Depth=1
	v_cvt_f64_f32_e32 v[14:15], v11
	v_cmp_ge_f64_e32 vcc, s[6:7], v[14:15]
	s_and_b64 s[30:31], s[0:1], vcc
	s_and_saveexec_b64 s[28:29], s[30:31]
	s_cbranch_execz .LBB0_23
; %bb.19:                               ;   in Loop: Header=BB0_5 Depth=1
	s_mov_b64 s[30:31], exec
	s_brev_b32 s11, -2
.LBB0_20:                               ;   Parent Loop BB0_5 Depth=1
                                        ; =>  This Inner Loop Header: Depth=2
	s_ff1_i32_b64 s15, s[30:31]
	v_readlane_b32 s36, v12, s15
	s_lshl_b64 s[34:35], 1, s15
	s_min_i32 s11, s11, s36
	s_andn2_b64 s[30:31], s[30:31], s[34:35]
	s_cmp_lg_u64 s[30:31], 0
	s_cbranch_scc1 .LBB0_20
; %bb.21:                               ;   in Loop: Header=BB0_5 Depth=1
	v_mbcnt_lo_u32_b32 v12, exec_lo, 0
	v_mbcnt_hi_u32_b32 v12, exec_hi, v12
	v_cmp_eq_u32_e32 vcc, 0, v12
	s_and_saveexec_b64 s[30:31], vcc
	s_xor_b64 s[30:31], exec, s[30:31]
	s_cbranch_execz .LBB0_23
; %bb.22:                               ;   in Loop: Header=BB0_5 Depth=1
	v_mov_b32_e32 v12, s11
	global_atomic_smin v21, v12, s[18:19]
.LBB0_23:                               ;   in Loop: Header=BB0_5 Depth=1
	s_or_b64 exec, exec, s[28:29]
	v_add_u32_e32 v12, v20, v13
	v_cmp_lt_i32_e32 vcc, v12, v10
	v_mov_b32_e32 v28, 0
	s_and_saveexec_b64 s[28:29], vcc
	s_cbranch_execz .LBB0_33
; %bb.24:                               ;   in Loop: Header=BB0_5 Depth=1
	s_mov_b64 s[30:31], 0
	v_mov_b32_e32 v28, 0
	v_mov_b32_e32 v29, v18
	s_branch .LBB0_26
.LBB0_25:                               ;   in Loop: Header=BB0_26 Depth=2
	s_or_b64 exec, exec, s[34:35]
	v_add_u32_e32 v12, 64, v12
	v_cmp_ge_i32_e32 vcc, v12, v10
	s_or_b64 s[30:31], vcc, s[30:31]
	s_andn2_b64 exec, exec, s[30:31]
	s_cbranch_execz .LBB0_32
.LBB0_26:                               ;   Parent Loop BB0_5 Depth=1
                                        ; =>  This Loop Header: Depth=2
                                        ;       Child Loop BB0_28 Depth 3
	v_add_u32_e32 v16, v29, v27
	v_ashrrev_i32_e32 v13, 31, v12
	v_lshlrev_b64 v[14:15], 2, v[12:13]
	v_ashrrev_i32_e32 v16, 1, v16
	v_add_co_u32_e32 v32, vcc, s22, v14
	v_ashrrev_i32_e32 v17, 31, v16
	v_addc_co_u32_e32 v33, vcc, v26, v15, vcc
	v_lshlrev_b64 v[30:31], 2, v[16:17]
	v_add_co_u32_e32 v34, vcc, s22, v30
	v_addc_co_u32_e32 v35, vcc, v26, v31, vcc
	global_load_dword v13, v[32:33], off
	global_load_dword v30, v[34:35], off
	v_cmp_lt_i32_e32 vcc, v29, v27
	s_and_saveexec_b64 s[34:35], vcc
	s_cbranch_execz .LBB0_30
; %bb.27:                               ;   in Loop: Header=BB0_26 Depth=2
	s_mov_b64 s[36:37], 0
	v_mov_b32_e32 v31, v27
.LBB0_28:                               ;   Parent Loop BB0_5 Depth=1
                                        ;     Parent Loop BB0_26 Depth=2
                                        ; =>    This Inner Loop Header: Depth=3
	v_add_u32_e32 v17, 1, v16
	s_waitcnt vmcnt(0)
	v_cmp_lt_i32_e32 vcc, v30, v13
	v_cndmask_b32_e32 v29, v29, v17, vcc
	v_cndmask_b32_e32 v31, v16, v31, vcc
	v_add_u32_e32 v16, v31, v29
	v_ashrrev_i32_e32 v16, 1, v16
	v_ashrrev_i32_e32 v17, 31, v16
	v_lshlrev_b64 v[32:33], 2, v[16:17]
	v_mov_b32_e32 v30, s23
	v_add_co_u32_e32 v32, vcc, s22, v32
	v_addc_co_u32_e32 v33, vcc, v30, v33, vcc
	global_load_dword v30, v[32:33], off
	v_cmp_ge_i32_e32 vcc, v29, v31
	s_or_b64 s[36:37], vcc, s[36:37]
	s_andn2_b64 exec, exec, s[36:37]
	s_cbranch_execnz .LBB0_28
; %bb.29:                               ;   in Loop: Header=BB0_26 Depth=2
	s_or_b64 exec, exec, s[36:37]
.LBB0_30:                               ;   in Loop: Header=BB0_26 Depth=2
	s_or_b64 exec, exec, s[34:35]
	s_waitcnt vmcnt(0)
	v_cmp_eq_u32_e32 vcc, v30, v13
	s_and_saveexec_b64 s[34:35], vcc
	s_cbranch_execz .LBB0_25
; %bb.31:                               ;   in Loop: Header=BB0_26 Depth=2
	v_lshlrev_b64 v[16:17], 2, v[16:17]
	v_mov_b32_e32 v13, s9
	v_add_co_u32_e32 v16, vcc, s8, v16
	v_addc_co_u32_e32 v17, vcc, v13, v17, vcc
	v_add_co_u32_e32 v14, vcc, s8, v14
	v_addc_co_u32_e32 v15, vcc, v13, v15, vcc
	global_load_dword v13, v[14:15], off
	global_load_dword v30, v[16:17], off
	s_waitcnt vmcnt(0)
	v_fmac_f32_e32 v28, v13, v30
	s_branch .LBB0_25
.LBB0_32:                               ;   in Loop: Header=BB0_5 Depth=1
	s_or_b64 exec, exec, s[30:31]
.LBB0_33:                               ;   in Loop: Header=BB0_5 Depth=1
	s_or_b64 exec, exec, s[28:29]
	v_mov_b32_dpp v10, v28 row_shr:1 row_mask:0xf bank_mask:0xf
	v_add_f32_e32 v10, v28, v10
	s_nop 1
	v_mov_b32_dpp v12, v10 row_shr:2 row_mask:0xf bank_mask:0xf
	v_add_f32_e32 v10, v10, v12
	s_nop 1
	;; [unrolled: 3-line block ×4, first 2 shown]
	v_mov_b32_dpp v12, v10 row_bcast:15 row_mask:0xa bank_mask:0xf
	v_add_f32_e32 v10, v10, v12
	s_nop 1
	v_mov_b32_dpp v12, v10 row_bcast:31 row_mask:0xc bank_mask:0xf
	s_and_saveexec_b64 s[28:29], s[2:3]
	s_cbranch_execz .LBB0_3
; %bb.34:                               ;   in Loop: Header=BB0_5 Depth=1
	v_div_scale_f32 v13, s[30:31], v11, v11, 1.0
	v_rcp_f32_e32 v14, v13
	v_div_scale_f32 v15, vcc, 1.0, v11, 1.0
	v_add_f32_e32 v10, v10, v12
	v_fma_f32 v16, -v13, v14, 1.0
	v_fmac_f32_e32 v14, v16, v14
	v_mul_f32_e32 v16, v15, v14
	v_fma_f32 v17, -v13, v16, v15
	v_fmac_f32_e32 v16, v17, v14
	v_fma_f32 v13, -v13, v16, v15
	v_div_fmas_f32 v13, v13, v14, v16
	v_div_fixup_f32 v11, v13, v11, 1.0
	v_sub_f32_e32 v1, v1, v10
	v_mul_f32_e32 v1, v11, v1
	v_fmac_f32_e32 v5, v1, v1
	global_store_dword v[8:9], v1, off
	s_branch .LBB0_3
.LBB0_35:
	s_or_b64 exec, exec, s[24:25]
.LBB0_36:
	s_or_b64 exec, exec, s[20:21]
	v_cmp_eq_u32_e32 vcc, 63, v7
	v_cmp_lt_i32_e64 s[0:1], -1, v6
	s_and_b64 s[0:1], vcc, s[0:1]
	s_and_saveexec_b64 s[4:5], s[0:1]
	s_cbranch_execz .LBB0_47
; %bb.37:
	v_mov_b32_e32 v7, 0
	v_lshlrev_b64 v[0:1], 2, v[6:7]
	v_mov_b32_e32 v6, s9
	v_add_co_u32_e64 v0, s[0:1], s8, v0
	v_addc_co_u32_e64 v1, s[0:1], v6, v1, s[0:1]
	global_load_dword v8, v[0:1], off
	v_mul_f64 v[6:7], s[6:7], s[6:7]
	s_waitcnt vmcnt(0)
	v_sub_f32_e32 v5, v8, v5
	v_cvt_f64_f32_e32 v[8:9], v5
	v_cmp_ge_f64_e64 s[0:1], v[6:7], v[8:9]
	s_and_saveexec_b64 s[2:3], s[0:1]
	s_cbranch_execz .LBB0_42
; %bb.38:
	s_mov_b64 s[0:1], exec
	v_add_u32_e32 v6, s33, v4
	s_brev_b32 s6, -2
.LBB0_39:                               ; =>This Inner Loop Header: Depth=1
	s_ff1_i32_b64 s7, s[0:1]
	v_readlane_b32 s10, v6, s7
	s_lshl_b64 s[8:9], 1, s7
	s_min_i32 s6, s6, s10
	s_andn2_b64 s[0:1], s[0:1], s[8:9]
	s_cmp_lg_u64 s[0:1], 0
	s_cbranch_scc1 .LBB0_39
; %bb.40:
	v_mbcnt_lo_u32_b32 v6, exec_lo, 0
	v_mbcnt_hi_u32_b32 v6, exec_hi, v6
	v_cmp_eq_u32_e64 s[0:1], 0, v6
	s_and_saveexec_b64 s[8:9], s[0:1]
	s_xor_b64 s[8:9], exec, s[8:9]
	s_cbranch_execz .LBB0_42
; %bb.41:
	v_mov_b32_e32 v6, 0
	v_mov_b32_e32 v7, s6
	global_atomic_smin v6, v7, s[18:19]
.LBB0_42:
	s_or_b64 exec, exec, s[2:3]
	v_cmp_gt_f32_e64 s[0:1], 0, v5
	v_cndmask_b32_e64 v5, v5, -v5, s[0:1]
	s_mov_b32 s0, 0xf800000
	v_mul_f32_e32 v6, 0x4f800000, v5
	v_cmp_gt_f32_e64 s[0:1], s0, v5
	v_cndmask_b32_e64 v5, v5, v6, s[0:1]
	v_sqrt_f32_e32 v6, v5
	v_add_u32_e32 v7, -1, v6
	v_fma_f32 v8, -v7, v6, v5
	v_cmp_ge_f32_e64 s[2:3], 0, v8
	v_add_u32_e32 v8, 1, v6
	v_cndmask_b32_e64 v7, v6, v7, s[2:3]
	v_fma_f32 v6, -v8, v6, v5
	v_cmp_lt_f32_e64 s[2:3], 0, v6
	v_cndmask_b32_e64 v6, v7, v8, s[2:3]
	v_mul_f32_e32 v7, 0x37800000, v6
	v_cndmask_b32_e64 v6, v6, v7, s[0:1]
	v_mov_b32_e32 v7, 0x260
	v_cmp_class_f32_e64 s[0:1], v5, v7
	v_cndmask_b32_e64 v5, v6, v5, s[0:1]
	v_cmp_eq_f32_e64 s[0:1], 0, v5
	global_store_dword v[0:1], v5, off
	s_and_b64 exec, exec, s[0:1]
	s_cbranch_execz .LBB0_47
; %bb.43:
	s_mov_b64 s[0:1], exec
	v_add_u32_e32 v0, s33, v4
	s_brev_b32 s2, -2
.LBB0_44:                               ; =>This Inner Loop Header: Depth=1
	s_ff1_i32_b64 s3, s[0:1]
	v_readlane_b32 s8, v0, s3
	s_lshl_b64 s[6:7], 1, s3
	s_min_i32 s2, s2, s8
	s_andn2_b64 s[0:1], s[0:1], s[6:7]
	s_cmp_lg_u64 s[0:1], 0
	s_cbranch_scc1 .LBB0_44
; %bb.45:
	v_mbcnt_lo_u32_b32 v0, exec_lo, 0
	v_mbcnt_hi_u32_b32 v0, exec_hi, v0
	v_cmp_eq_u32_e64 s[0:1], 0, v0
	s_and_saveexec_b64 s[6:7], s[0:1]
	s_xor_b64 s[6:7], exec, s[6:7]
	s_cbranch_execz .LBB0_47
; %bb.46:
	v_mov_b32_e32 v0, 0
	v_mov_b32_e32 v1, s2
	global_atomic_smin v0, v1, s[16:17]
.LBB0_47:
	s_or_b64 exec, exec, s[4:5]
	s_and_b64 exec, exec, vcc
	s_cbranch_execz .LBB0_49
; %bb.48:
	v_mov_b32_e32 v1, s13
	v_add_co_u32_e32 v0, vcc, s12, v2
	v_addc_co_u32_e32 v1, vcc, v1, v3, vcc
	v_mov_b32_e32 v2, 1
	s_waitcnt vmcnt(0)
	global_store_dword v[0:1], v2, off
.LBB0_49:
	s_endpgm
	.section	.rodata,"a",@progbits
	.p2align	6, 0x0
	.amdhsa_kernel _ZN9rocsparseL23csric0_binsearch_kernelILj256ELj64ELb1EfEEviPKiS2_PT2_S2_PiS2_S5_S5_d21rocsparse_index_base_
		.amdhsa_group_segment_fixed_size 0
		.amdhsa_private_segment_fixed_size 0
		.amdhsa_kernarg_size 84
		.amdhsa_user_sgpr_count 6
		.amdhsa_user_sgpr_private_segment_buffer 1
		.amdhsa_user_sgpr_dispatch_ptr 0
		.amdhsa_user_sgpr_queue_ptr 0
		.amdhsa_user_sgpr_kernarg_segment_ptr 1
		.amdhsa_user_sgpr_dispatch_id 0
		.amdhsa_user_sgpr_flat_scratch_init 0
		.amdhsa_user_sgpr_kernarg_preload_length 0
		.amdhsa_user_sgpr_kernarg_preload_offset 0
		.amdhsa_user_sgpr_private_segment_size 0
		.amdhsa_uses_dynamic_stack 0
		.amdhsa_system_sgpr_private_segment_wavefront_offset 0
		.amdhsa_system_sgpr_workgroup_id_x 1
		.amdhsa_system_sgpr_workgroup_id_y 0
		.amdhsa_system_sgpr_workgroup_id_z 0
		.amdhsa_system_sgpr_workgroup_info 0
		.amdhsa_system_vgpr_workitem_id 0
		.amdhsa_next_free_vgpr 36
		.amdhsa_next_free_sgpr 38
		.amdhsa_accum_offset 36
		.amdhsa_reserve_vcc 1
		.amdhsa_reserve_flat_scratch 0
		.amdhsa_float_round_mode_32 0
		.amdhsa_float_round_mode_16_64 0
		.amdhsa_float_denorm_mode_32 3
		.amdhsa_float_denorm_mode_16_64 3
		.amdhsa_dx10_clamp 1
		.amdhsa_ieee_mode 1
		.amdhsa_fp16_overflow 0
		.amdhsa_tg_split 0
		.amdhsa_exception_fp_ieee_invalid_op 0
		.amdhsa_exception_fp_denorm_src 0
		.amdhsa_exception_fp_ieee_div_zero 0
		.amdhsa_exception_fp_ieee_overflow 0
		.amdhsa_exception_fp_ieee_underflow 0
		.amdhsa_exception_fp_ieee_inexact 0
		.amdhsa_exception_int_div_zero 0
	.end_amdhsa_kernel
	.section	.text._ZN9rocsparseL23csric0_binsearch_kernelILj256ELj64ELb1EfEEviPKiS2_PT2_S2_PiS2_S5_S5_d21rocsparse_index_base_,"axG",@progbits,_ZN9rocsparseL23csric0_binsearch_kernelILj256ELj64ELb1EfEEviPKiS2_PT2_S2_PiS2_S5_S5_d21rocsparse_index_base_,comdat
.Lfunc_end0:
	.size	_ZN9rocsparseL23csric0_binsearch_kernelILj256ELj64ELb1EfEEviPKiS2_PT2_S2_PiS2_S5_S5_d21rocsparse_index_base_, .Lfunc_end0-_ZN9rocsparseL23csric0_binsearch_kernelILj256ELj64ELb1EfEEviPKiS2_PT2_S2_PiS2_S5_S5_d21rocsparse_index_base_
                                        ; -- End function
	.section	.AMDGPU.csdata,"",@progbits
; Kernel info:
; codeLenInByte = 1856
; NumSgprs: 42
; NumVgprs: 36
; NumAgprs: 0
; TotalNumVgprs: 36
; ScratchSize: 0
; MemoryBound: 0
; FloatMode: 240
; IeeeMode: 1
; LDSByteSize: 0 bytes/workgroup (compile time only)
; SGPRBlocks: 5
; VGPRBlocks: 4
; NumSGPRsForWavesPerEU: 42
; NumVGPRsForWavesPerEU: 36
; AccumOffset: 36
; Occupancy: 8
; WaveLimiterHint : 1
; COMPUTE_PGM_RSRC2:SCRATCH_EN: 0
; COMPUTE_PGM_RSRC2:USER_SGPR: 6
; COMPUTE_PGM_RSRC2:TRAP_HANDLER: 0
; COMPUTE_PGM_RSRC2:TGID_X_EN: 1
; COMPUTE_PGM_RSRC2:TGID_Y_EN: 0
; COMPUTE_PGM_RSRC2:TGID_Z_EN: 0
; COMPUTE_PGM_RSRC2:TIDIG_COMP_CNT: 0
; COMPUTE_PGM_RSRC3_GFX90A:ACCUM_OFFSET: 8
; COMPUTE_PGM_RSRC3_GFX90A:TG_SPLIT: 0
	.section	.text._ZN9rocsparseL18csric0_hash_kernelILj256ELj32ELj1EfEEviPKiS2_PT2_S2_PiS2_S5_S5_d21rocsparse_index_base_,"axG",@progbits,_ZN9rocsparseL18csric0_hash_kernelILj256ELj32ELj1EfEEviPKiS2_PT2_S2_PiS2_S5_S5_d21rocsparse_index_base_,comdat
	.globl	_ZN9rocsparseL18csric0_hash_kernelILj256ELj32ELj1EfEEviPKiS2_PT2_S2_PiS2_S5_S5_d21rocsparse_index_base_ ; -- Begin function _ZN9rocsparseL18csric0_hash_kernelILj256ELj32ELj1EfEEviPKiS2_PT2_S2_PiS2_S5_S5_d21rocsparse_index_base_
	.p2align	8
	.type	_ZN9rocsparseL18csric0_hash_kernelILj256ELj32ELj1EfEEviPKiS2_PT2_S2_PiS2_S5_S5_d21rocsparse_index_base_,@function
_ZN9rocsparseL18csric0_hash_kernelILj256ELj32ELj1EfEEviPKiS2_PT2_S2_PiS2_S5_S5_d21rocsparse_index_base_: ; @_ZN9rocsparseL18csric0_hash_kernelILj256ELj32ELj1EfEEviPKiS2_PT2_S2_PiS2_S5_S5_d21rocsparse_index_base_
; %bb.0:
	s_load_dword s0, s[4:5], 0x0
	s_lshl_b32 s1, s6, 3
	v_and_b32_e32 v5, 31, v0
	v_and_b32_e32 v6, 0xe0, v0
	v_mov_b32_e32 v1, 0x400
	v_lshrrev_b32_e32 v0, 5, v0
	s_and_b32 s1, s1, 0x7fffff8
	v_lshl_or_b32 v16, v6, 2, v1
	v_or_b32_e32 v0, s1, v0
	v_lshl_or_b32 v1, v5, 2, v16
	v_mov_b32_e32 v2, -1
	s_waitcnt lgkmcnt(0)
	v_cmp_gt_i32_e32 vcc, s0, v0
	ds_write_b32 v1, v2
	s_waitcnt lgkmcnt(0)
	s_and_saveexec_b64 s[0:1], vcc
	s_cbranch_execz .LBB1_46
; %bb.1:
	s_load_dwordx8 s[8:15], s[4:5], 0x28
	v_lshlrev_b32_e32 v0, 2, v0
	s_load_dwordx8 s[16:23], s[4:5], 0x8
	s_load_dword s33, s[4:5], 0x50
	s_waitcnt lgkmcnt(0)
	global_load_dword v2, v0, s[10:11]
	v_mov_b32_e32 v7, s17
	v_mov_b32_e32 v4, s23
	s_waitcnt vmcnt(0)
	v_ashrrev_i32_e32 v3, 31, v2
	v_lshlrev_b64 v[0:1], 2, v[2:3]
	v_add_co_u32_e32 v8, vcc, s16, v0
	v_addc_co_u32_e32 v9, vcc, v7, v1, vcc
	global_load_dwordx2 v[8:9], v[8:9], off
	v_add_co_u32_e32 v10, vcc, s22, v0
	v_addc_co_u32_e32 v11, vcc, v4, v1, vcc
	global_load_dword v4, v[10:11], off
	v_lshlrev_b32_e32 v3, 2, v6
	s_waitcnt vmcnt(1)
	v_subrev_u32_e32 v6, s33, v8
	v_subrev_u32_e32 v7, s33, v9
	v_add_u32_e32 v8, v6, v5
	v_cmp_lt_i32_e32 vcc, v8, v7
	s_and_saveexec_b64 s[0:1], vcc
	s_cbranch_execz .LBB1_11
; %bb.2:
	s_mov_b64 s[2:3], 0
	v_mov_b32_e32 v10, s19
	v_mov_b32_e32 v11, -1
	s_branch .LBB1_4
.LBB1_3:                                ;   in Loop: Header=BB1_4 Depth=1
	s_or_b64 exec, exec, s[6:7]
	v_add_u32_e32 v8, 32, v8
	v_cmp_ge_i32_e32 vcc, v8, v7
	s_or_b64 s[2:3], vcc, s[2:3]
	s_andn2_b64 exec, exec, s[2:3]
	s_cbranch_execz .LBB1_11
.LBB1_4:                                ; =>This Loop Header: Depth=1
                                        ;     Child Loop BB1_7 Depth 2
	v_ashrrev_i32_e32 v9, 31, v8
	v_lshlrev_b64 v[12:13], 2, v[8:9]
	v_add_co_u32_e32 v12, vcc, s18, v12
	v_addc_co_u32_e32 v13, vcc, v10, v13, vcc
	global_load_dword v9, v[12:13], off
	s_waitcnt vmcnt(0)
	v_mul_lo_u32 v12, v9, 7
	v_and_b32_e32 v12, 31, v12
	v_lshl_add_u32 v13, v12, 2, v16
	ds_read_b32 v14, v13
	s_waitcnt lgkmcnt(0)
	v_cmp_ne_u32_e32 vcc, v14, v9
	s_and_saveexec_b64 s[6:7], vcc
	s_cbranch_execz .LBB1_3
; %bb.5:                                ;   in Loop: Header=BB1_4 Depth=1
	s_mov_b64 s[10:11], 0
                                        ; implicit-def: $sgpr24_sgpr25
                                        ; implicit-def: $sgpr28_sgpr29
                                        ; implicit-def: $sgpr26_sgpr27
	s_branch .LBB1_7
.LBB1_6:                                ;   in Loop: Header=BB1_7 Depth=2
	s_or_b64 exec, exec, s[30:31]
	s_and_b64 s[30:31], exec, s[28:29]
	s_or_b64 s[10:11], s[30:31], s[10:11]
	s_andn2_b64 s[24:25], s[24:25], exec
	s_and_b64 s[30:31], s[26:27], exec
	s_or_b64 s[24:25], s[24:25], s[30:31]
	s_andn2_b64 exec, exec, s[10:11]
	s_cbranch_execz .LBB1_9
.LBB1_7:                                ;   Parent Loop BB1_4 Depth=1
                                        ; =>  This Inner Loop Header: Depth=2
	ds_cmpst_rtn_b32 v13, v13, v11, v9
	v_mov_b32_e32 v14, v12
	s_or_b64 s[26:27], s[26:27], exec
	s_or_b64 s[28:29], s[28:29], exec
                                        ; implicit-def: $vgpr12
	s_waitcnt lgkmcnt(0)
	v_cmp_ne_u32_e32 vcc, -1, v13
                                        ; implicit-def: $vgpr13
	s_and_saveexec_b64 s[30:31], vcc
	s_cbranch_execz .LBB1_6
; %bb.8:                                ;   in Loop: Header=BB1_7 Depth=2
	v_add_u32_e32 v12, 1, v14
	v_and_b32_e32 v12, 31, v12
	v_lshl_add_u32 v13, v12, 2, v16
	ds_read_b32 v15, v13
	s_andn2_b64 s[28:29], s[28:29], exec
	s_andn2_b64 s[26:27], s[26:27], exec
	s_waitcnt lgkmcnt(0)
	v_cmp_eq_u32_e32 vcc, v15, v9
	s_and_b64 s[34:35], vcc, exec
	s_or_b64 s[28:29], s[28:29], s[34:35]
	s_branch .LBB1_6
.LBB1_9:                                ;   in Loop: Header=BB1_4 Depth=1
	s_or_b64 exec, exec, s[10:11]
	s_and_saveexec_b64 s[10:11], s[24:25]
	s_xor_b64 s[10:11], exec, s[10:11]
	s_cbranch_execz .LBB1_3
; %bb.10:                               ;   in Loop: Header=BB1_4 Depth=1
	v_lshl_add_u32 v9, v14, 2, v3
	ds_write_b32 v9, v8
	s_branch .LBB1_3
.LBB1_11:
	s_or_b64 exec, exec, s[0:1]
	s_waitcnt vmcnt(0)
	v_cmp_lt_i32_e32 vcc, v6, v4
	v_mov_b32_e32 v17, 0
	s_waitcnt lgkmcnt(0)
	s_and_saveexec_b64 s[6:7], vcc
	s_cbranch_execz .LBB1_33
; %bb.12:
	v_add_u32_e32 v18, -1, v4
	v_subrev_u32_e32 v19, s33, v5
	v_cmp_eq_u32_e64 s[0:1], 31, v5
	s_mov_b64 s[10:11], 0
	v_mov_b32_e32 v17, 0
	v_mov_b32_e32 v20, s19
	v_mov_b32_e32 v21, s21
	v_mov_b32_e32 v22, s17
	v_mov_b32_e32 v23, s23
	v_mov_b32_e32 v24, s9
	s_branch .LBB1_15
.LBB1_13:                               ;   in Loop: Header=BB1_15 Depth=1
	s_or_b64 exec, exec, s[26:27]
.LBB1_14:                               ;   in Loop: Header=BB1_15 Depth=1
	s_or_b64 exec, exec, s[24:25]
	v_add_u32_e32 v6, 1, v6
	v_cmp_ge_i32_e32 vcc, v6, v4
	s_xor_b64 s[2:3], s[2:3], -1
	s_or_b64 s[2:3], s[2:3], vcc
	s_and_b64 s[2:3], exec, s[2:3]
	s_or_b64 s[10:11], s[2:3], s[10:11]
	s_andn2_b64 exec, exec, s[10:11]
	s_cbranch_execz .LBB1_32
.LBB1_15:                               ; =>This Loop Header: Depth=1
                                        ;     Child Loop BB1_16 Depth 2
                                        ;     Child Loop BB1_22 Depth 2
                                        ;       Child Loop BB1_25 Depth 3
	v_ashrrev_i32_e32 v7, 31, v6
	v_lshlrev_b64 v[8:9], 2, v[6:7]
	v_add_co_u32_e32 v10, vcc, s18, v8
	v_addc_co_u32_e32 v11, vcc, v20, v9, vcc
	global_load_dword v10, v[10:11], off
	v_add_co_u32_e32 v8, vcc, s20, v8
	v_addc_co_u32_e32 v9, vcc, v21, v9, vcc
	global_load_dword v7, v[8:9], off
	s_mov_b64 s[2:3], 0
	s_waitcnt vmcnt(1)
	v_subrev_u32_e32 v10, s33, v10
	v_ashrrev_i32_e32 v11, 31, v10
	v_lshlrev_b64 v[10:11], 2, v[10:11]
	v_add_co_u32_e32 v14, vcc, s16, v10
	v_addc_co_u32_e32 v15, vcc, v22, v11, vcc
	v_add_co_u32_e32 v26, vcc, s22, v10
	v_addc_co_u32_e32 v27, vcc, v23, v11, vcc
	global_load_dword v12, v[14:15], off
	global_load_dword v13, v[26:27], off
	v_add_co_u32_e32 v10, vcc, s8, v10
	v_addc_co_u32_e32 v11, vcc, v24, v11, vcc
.LBB1_16:                               ;   Parent Loop BB1_15 Depth=1
                                        ; =>  This Inner Loop Header: Depth=2
	global_load_dword v14, v[10:11], off glc
	s_waitcnt vmcnt(0)
	v_cmp_ne_u32_e32 vcc, 0, v14
	s_or_b64 s[2:3], vcc, s[2:3]
	s_andn2_b64 exec, exec, s[2:3]
	s_cbranch_execnz .LBB1_16
; %bb.17:                               ;   in Loop: Header=BB1_15 Depth=1
	s_or_b64 exec, exec, s[2:3]
	v_cmp_eq_u32_e32 vcc, -1, v13
	v_cndmask_b32_e32 v10, v13, v18, vcc
	v_ashrrev_i32_e32 v11, 31, v10
	v_lshlrev_b64 v[14:15], 2, v[10:11]
	v_add_co_u32_e32 v14, vcc, s20, v14
	v_addc_co_u32_e32 v15, vcc, v21, v15, vcc
	buffer_wbinvl1_vol
	global_load_dword v11, v[14:15], off
	s_waitcnt vmcnt(0)
	v_cmp_neq_f32_e64 s[2:3], 0, v11
	s_and_saveexec_b64 s[24:25], s[2:3]
	s_cbranch_execz .LBB1_14
; %bb.18:                               ;   in Loop: Header=BB1_15 Depth=1
	v_add_u32_e32 v12, v19, v12
	v_cmp_lt_i32_e32 vcc, v12, v10
	v_mov_b32_e32 v25, 0
	s_and_saveexec_b64 s[26:27], vcc
	s_cbranch_execz .LBB1_30
; %bb.19:                               ;   in Loop: Header=BB1_15 Depth=1
	s_mov_b64 s[28:29], 0
	v_mov_b32_e32 v25, 0
	s_branch .LBB1_22
.LBB1_20:                               ;   in Loop: Header=BB1_22 Depth=2
	s_or_b64 exec, exec, s[34:35]
.LBB1_21:                               ;   in Loop: Header=BB1_22 Depth=2
	s_or_b64 exec, exec, s[30:31]
	v_add_u32_e32 v12, 32, v12
	v_cmp_ge_i32_e32 vcc, v12, v10
	s_or_b64 s[28:29], vcc, s[28:29]
	s_andn2_b64 exec, exec, s[28:29]
	s_cbranch_execz .LBB1_29
.LBB1_22:                               ;   Parent Loop BB1_15 Depth=1
                                        ; =>  This Loop Header: Depth=2
                                        ;       Child Loop BB1_25 Depth 3
	v_ashrrev_i32_e32 v13, 31, v12
	v_lshlrev_b64 v[14:15], 2, v[12:13]
	v_add_co_u32_e32 v26, vcc, s18, v14
	v_addc_co_u32_e32 v27, vcc, v20, v15, vcc
	global_load_dword v13, v[26:27], off
	s_waitcnt vmcnt(0)
	v_mul_lo_u32 v26, v13, 7
	v_and_b32_e32 v28, 31, v26
	v_lshl_add_u32 v26, v28, 2, v16
	ds_read_b32 v27, v26
	s_waitcnt lgkmcnt(0)
	v_cmp_ne_u32_e32 vcc, -1, v27
	s_and_saveexec_b64 s[30:31], vcc
	s_cbranch_execz .LBB1_21
; %bb.23:                               ;   in Loop: Header=BB1_22 Depth=2
	s_mov_b64 s[34:35], 0
                                        ; implicit-def: $sgpr36_sgpr37
                                        ; implicit-def: $sgpr40_sgpr41
                                        ; implicit-def: $sgpr38_sgpr39
	s_branch .LBB1_25
.LBB1_24:                               ;   in Loop: Header=BB1_25 Depth=3
	s_or_b64 exec, exec, s[42:43]
	s_and_b64 s[42:43], exec, s[40:41]
	s_or_b64 s[34:35], s[42:43], s[34:35]
	s_andn2_b64 s[36:37], s[36:37], exec
	s_and_b64 s[42:43], s[38:39], exec
	s_or_b64 s[36:37], s[36:37], s[42:43]
	s_andn2_b64 exec, exec, s[34:35]
	s_cbranch_execz .LBB1_27
.LBB1_25:                               ;   Parent Loop BB1_15 Depth=1
                                        ;     Parent Loop BB1_22 Depth=2
                                        ; =>    This Inner Loop Header: Depth=3
	v_mov_b32_e32 v26, v28
	v_cmp_ne_u32_e32 vcc, v27, v13
	s_or_b64 s[38:39], s[38:39], exec
	s_or_b64 s[40:41], s[40:41], exec
                                        ; implicit-def: $vgpr28
                                        ; implicit-def: $vgpr27
	s_and_saveexec_b64 s[42:43], vcc
	s_cbranch_execz .LBB1_24
; %bb.26:                               ;   in Loop: Header=BB1_25 Depth=3
	v_add_u32_e32 v27, 1, v26
	v_and_b32_e32 v28, 31, v27
	v_lshl_add_u32 v27, v28, 2, v16
	ds_read_b32 v27, v27
	s_andn2_b64 s[40:41], s[40:41], exec
	s_andn2_b64 s[38:39], s[38:39], exec
	s_waitcnt lgkmcnt(0)
	v_cmp_eq_u32_e32 vcc, -1, v27
	s_and_b64 s[44:45], vcc, exec
	s_or_b64 s[40:41], s[40:41], s[44:45]
	s_branch .LBB1_24
.LBB1_27:                               ;   in Loop: Header=BB1_22 Depth=2
	s_or_b64 exec, exec, s[34:35]
	s_and_saveexec_b64 s[34:35], s[36:37]
	s_xor_b64 s[34:35], exec, s[34:35]
	s_cbranch_execz .LBB1_20
; %bb.28:                               ;   in Loop: Header=BB1_22 Depth=2
	v_lshl_add_u32 v13, v26, 2, v3
	ds_read_b32 v26, v13
	v_add_co_u32_e32 v14, vcc, s20, v14
	v_addc_co_u32_e32 v15, vcc, v21, v15, vcc
	s_waitcnt lgkmcnt(0)
	v_ashrrev_i32_e32 v27, 31, v26
	v_lshlrev_b64 v[26:27], 2, v[26:27]
	v_add_co_u32_e32 v26, vcc, s20, v26
	v_addc_co_u32_e32 v27, vcc, v21, v27, vcc
	global_load_dword v13, v[14:15], off
	global_load_dword v28, v[26:27], off
	s_waitcnt vmcnt(0)
	v_fmac_f32_e32 v25, v13, v28
	s_branch .LBB1_20
.LBB1_29:                               ;   in Loop: Header=BB1_15 Depth=1
	s_or_b64 exec, exec, s[28:29]
.LBB1_30:                               ;   in Loop: Header=BB1_15 Depth=1
	s_or_b64 exec, exec, s[26:27]
	v_mov_b32_dpp v10, v25 row_shr:1 row_mask:0xf bank_mask:0xf
	v_add_f32_e32 v10, v25, v10
	s_nop 1
	v_mov_b32_dpp v12, v10 row_shr:2 row_mask:0xf bank_mask:0xf
	v_add_f32_e32 v10, v10, v12
	s_nop 1
	;; [unrolled: 3-line block ×4, first 2 shown]
	v_mov_b32_dpp v12, v10 row_bcast:15 row_mask:0xa bank_mask:0xf
	s_and_saveexec_b64 s[26:27], s[0:1]
	s_cbranch_execz .LBB1_13
; %bb.31:                               ;   in Loop: Header=BB1_15 Depth=1
	v_div_scale_f32 v13, s[28:29], v11, v11, 1.0
	v_rcp_f32_e32 v14, v13
	v_div_scale_f32 v15, vcc, 1.0, v11, 1.0
	v_add_f32_e32 v10, v10, v12
	v_fma_f32 v25, -v13, v14, 1.0
	v_fmac_f32_e32 v14, v25, v14
	v_mul_f32_e32 v25, v15, v14
	v_fma_f32 v26, -v13, v25, v15
	v_fmac_f32_e32 v25, v26, v14
	v_fma_f32 v13, -v13, v25, v15
	v_div_fmas_f32 v13, v13, v14, v25
	v_div_fixup_f32 v11, v13, v11, 1.0
	v_sub_f32_e32 v7, v7, v10
	v_mul_f32_e32 v7, v11, v7
	v_fmac_f32_e32 v17, v7, v7
	global_store_dword v[8:9], v7, off
	s_branch .LBB1_13
.LBB1_32:
	s_or_b64 exec, exec, s[10:11]
.LBB1_33:
	s_or_b64 exec, exec, s[6:7]
	v_cmp_eq_u32_e32 vcc, 31, v5
	v_cmp_lt_i32_e64 s[0:1], -1, v4
	s_and_b64 s[0:1], vcc, s[0:1]
	s_and_saveexec_b64 s[6:7], s[0:1]
	s_cbranch_execz .LBB1_44
; %bb.34:
	v_mov_b32_e32 v5, 0
	v_lshlrev_b64 v[4:5], 2, v[4:5]
	v_mov_b32_e32 v3, s21
	v_add_co_u32_e64 v4, s[0:1], s20, v4
	v_addc_co_u32_e64 v5, s[0:1], v3, v5, s[0:1]
	global_load_dword v3, v[4:5], off
	s_load_dwordx2 s[0:1], s[4:5], 0x48
	v_add_u32_e32 v2, s33, v2
	s_waitcnt lgkmcnt(0)
	v_mul_f64 v[6:7], s[0:1], s[0:1]
	s_waitcnt vmcnt(0)
	v_sub_f32_e32 v3, v3, v17
	v_cvt_f64_f32_e32 v[8:9], v3
	v_cmp_ge_f64_e64 s[0:1], v[6:7], v[8:9]
	s_and_saveexec_b64 s[2:3], s[0:1]
	s_cbranch_execz .LBB1_39
; %bb.35:
	s_mov_b64 s[0:1], exec
	s_brev_b32 s4, -2
.LBB1_36:                               ; =>This Inner Loop Header: Depth=1
	s_ff1_i32_b64 s5, s[0:1]
	v_readlane_b32 s16, v2, s5
	s_lshl_b64 s[10:11], 1, s5
	s_min_i32 s4, s4, s16
	s_andn2_b64 s[0:1], s[0:1], s[10:11]
	s_cmp_lg_u64 s[0:1], 0
	s_cbranch_scc1 .LBB1_36
; %bb.37:
	v_mbcnt_lo_u32_b32 v6, exec_lo, 0
	v_mbcnt_hi_u32_b32 v6, exec_hi, v6
	v_cmp_eq_u32_e64 s[0:1], 0, v6
	s_and_saveexec_b64 s[10:11], s[0:1]
	s_xor_b64 s[10:11], exec, s[10:11]
	s_cbranch_execz .LBB1_39
; %bb.38:
	v_mov_b32_e32 v6, 0
	v_mov_b32_e32 v7, s4
	global_atomic_smin v6, v7, s[14:15]
.LBB1_39:
	s_or_b64 exec, exec, s[2:3]
	v_cmp_gt_f32_e64 s[0:1], 0, v3
	v_cndmask_b32_e64 v3, v3, -v3, s[0:1]
	s_mov_b32 s0, 0xf800000
	v_mul_f32_e32 v6, 0x4f800000, v3
	v_cmp_gt_f32_e64 s[0:1], s0, v3
	v_cndmask_b32_e64 v3, v3, v6, s[0:1]
	v_sqrt_f32_e32 v6, v3
	v_add_u32_e32 v7, -1, v6
	v_fma_f32 v8, -v7, v6, v3
	v_cmp_ge_f32_e64 s[2:3], 0, v8
	v_add_u32_e32 v8, 1, v6
	v_cndmask_b32_e64 v7, v6, v7, s[2:3]
	v_fma_f32 v6, -v8, v6, v3
	v_cmp_lt_f32_e64 s[2:3], 0, v6
	v_cndmask_b32_e64 v6, v7, v8, s[2:3]
	v_mul_f32_e32 v7, 0x37800000, v6
	v_cndmask_b32_e64 v6, v6, v7, s[0:1]
	v_mov_b32_e32 v7, 0x260
	v_cmp_class_f32_e64 s[0:1], v3, v7
	v_cndmask_b32_e64 v3, v6, v3, s[0:1]
	v_cmp_eq_f32_e64 s[0:1], 0, v3
	global_store_dword v[4:5], v3, off
	s_and_b64 exec, exec, s[0:1]
	s_cbranch_execz .LBB1_44
; %bb.40:
	s_mov_b64 s[0:1], exec
	s_brev_b32 s2, -2
.LBB1_41:                               ; =>This Inner Loop Header: Depth=1
	s_ff1_i32_b64 s3, s[0:1]
	v_readlane_b32 s10, v2, s3
	s_lshl_b64 s[4:5], 1, s3
	s_min_i32 s2, s2, s10
	s_andn2_b64 s[0:1], s[0:1], s[4:5]
	s_cmp_lg_u64 s[0:1], 0
	s_cbranch_scc1 .LBB1_41
; %bb.42:
	v_mbcnt_lo_u32_b32 v2, exec_lo, 0
	v_mbcnt_hi_u32_b32 v2, exec_hi, v2
	v_cmp_eq_u32_e64 s[0:1], 0, v2
	s_and_saveexec_b64 s[4:5], s[0:1]
	s_xor_b64 s[4:5], exec, s[4:5]
	s_cbranch_execz .LBB1_44
; %bb.43:
	v_mov_b32_e32 v2, 0
	v_mov_b32_e32 v3, s2
	global_atomic_smin v2, v3, s[12:13]
.LBB1_44:
	s_or_b64 exec, exec, s[6:7]
	s_and_b64 exec, exec, vcc
	s_cbranch_execz .LBB1_46
; %bb.45:
	v_mov_b32_e32 v2, s9
	v_add_co_u32_e32 v0, vcc, s8, v0
	v_addc_co_u32_e32 v1, vcc, v2, v1, vcc
	v_mov_b32_e32 v2, 1
	s_waitcnt vmcnt(0)
	global_store_dword v[0:1], v2, off
.LBB1_46:
	s_endpgm
	.section	.rodata,"a",@progbits
	.p2align	6, 0x0
	.amdhsa_kernel _ZN9rocsparseL18csric0_hash_kernelILj256ELj32ELj1EfEEviPKiS2_PT2_S2_PiS2_S5_S5_d21rocsparse_index_base_
		.amdhsa_group_segment_fixed_size 2048
		.amdhsa_private_segment_fixed_size 0
		.amdhsa_kernarg_size 84
		.amdhsa_user_sgpr_count 6
		.amdhsa_user_sgpr_private_segment_buffer 1
		.amdhsa_user_sgpr_dispatch_ptr 0
		.amdhsa_user_sgpr_queue_ptr 0
		.amdhsa_user_sgpr_kernarg_segment_ptr 1
		.amdhsa_user_sgpr_dispatch_id 0
		.amdhsa_user_sgpr_flat_scratch_init 0
		.amdhsa_user_sgpr_kernarg_preload_length 0
		.amdhsa_user_sgpr_kernarg_preload_offset 0
		.amdhsa_user_sgpr_private_segment_size 0
		.amdhsa_uses_dynamic_stack 0
		.amdhsa_system_sgpr_private_segment_wavefront_offset 0
		.amdhsa_system_sgpr_workgroup_id_x 1
		.amdhsa_system_sgpr_workgroup_id_y 0
		.amdhsa_system_sgpr_workgroup_id_z 0
		.amdhsa_system_sgpr_workgroup_info 0
		.amdhsa_system_vgpr_workitem_id 0
		.amdhsa_next_free_vgpr 29
		.amdhsa_next_free_sgpr 46
		.amdhsa_accum_offset 32
		.amdhsa_reserve_vcc 1
		.amdhsa_reserve_flat_scratch 0
		.amdhsa_float_round_mode_32 0
		.amdhsa_float_round_mode_16_64 0
		.amdhsa_float_denorm_mode_32 3
		.amdhsa_float_denorm_mode_16_64 3
		.amdhsa_dx10_clamp 1
		.amdhsa_ieee_mode 1
		.amdhsa_fp16_overflow 0
		.amdhsa_tg_split 0
		.amdhsa_exception_fp_ieee_invalid_op 0
		.amdhsa_exception_fp_denorm_src 0
		.amdhsa_exception_fp_ieee_div_zero 0
		.amdhsa_exception_fp_ieee_overflow 0
		.amdhsa_exception_fp_ieee_underflow 0
		.amdhsa_exception_fp_ieee_inexact 0
		.amdhsa_exception_int_div_zero 0
	.end_amdhsa_kernel
	.section	.text._ZN9rocsparseL18csric0_hash_kernelILj256ELj32ELj1EfEEviPKiS2_PT2_S2_PiS2_S5_S5_d21rocsparse_index_base_,"axG",@progbits,_ZN9rocsparseL18csric0_hash_kernelILj256ELj32ELj1EfEEviPKiS2_PT2_S2_PiS2_S5_S5_d21rocsparse_index_base_,comdat
.Lfunc_end1:
	.size	_ZN9rocsparseL18csric0_hash_kernelILj256ELj32ELj1EfEEviPKiS2_PT2_S2_PiS2_S5_S5_d21rocsparse_index_base_, .Lfunc_end1-_ZN9rocsparseL18csric0_hash_kernelILj256ELj32ELj1EfEEviPKiS2_PT2_S2_PiS2_S5_S5_d21rocsparse_index_base_
                                        ; -- End function
	.section	.AMDGPU.csdata,"",@progbits
; Kernel info:
; codeLenInByte = 1884
; NumSgprs: 50
; NumVgprs: 29
; NumAgprs: 0
; TotalNumVgprs: 29
; ScratchSize: 0
; MemoryBound: 0
; FloatMode: 240
; IeeeMode: 1
; LDSByteSize: 2048 bytes/workgroup (compile time only)
; SGPRBlocks: 6
; VGPRBlocks: 3
; NumSGPRsForWavesPerEU: 50
; NumVGPRsForWavesPerEU: 29
; AccumOffset: 32
; Occupancy: 8
; WaveLimiterHint : 1
; COMPUTE_PGM_RSRC2:SCRATCH_EN: 0
; COMPUTE_PGM_RSRC2:USER_SGPR: 6
; COMPUTE_PGM_RSRC2:TRAP_HANDLER: 0
; COMPUTE_PGM_RSRC2:TGID_X_EN: 1
; COMPUTE_PGM_RSRC2:TGID_Y_EN: 0
; COMPUTE_PGM_RSRC2:TGID_Z_EN: 0
; COMPUTE_PGM_RSRC2:TIDIG_COMP_CNT: 0
; COMPUTE_PGM_RSRC3_GFX90A:ACCUM_OFFSET: 7
; COMPUTE_PGM_RSRC3_GFX90A:TG_SPLIT: 0
	.section	.text._ZN9rocsparseL18csric0_hash_kernelILj256ELj32ELj2EfEEviPKiS2_PT2_S2_PiS2_S5_S5_d21rocsparse_index_base_,"axG",@progbits,_ZN9rocsparseL18csric0_hash_kernelILj256ELj32ELj2EfEEviPKiS2_PT2_S2_PiS2_S5_S5_d21rocsparse_index_base_,comdat
	.globl	_ZN9rocsparseL18csric0_hash_kernelILj256ELj32ELj2EfEEviPKiS2_PT2_S2_PiS2_S5_S5_d21rocsparse_index_base_ ; -- Begin function _ZN9rocsparseL18csric0_hash_kernelILj256ELj32ELj2EfEEviPKiS2_PT2_S2_PiS2_S5_S5_d21rocsparse_index_base_
	.p2align	8
	.type	_ZN9rocsparseL18csric0_hash_kernelILj256ELj32ELj2EfEEviPKiS2_PT2_S2_PiS2_S5_S5_d21rocsparse_index_base_,@function
_ZN9rocsparseL18csric0_hash_kernelILj256ELj32ELj2EfEEviPKiS2_PT2_S2_PiS2_S5_S5_d21rocsparse_index_base_: ; @_ZN9rocsparseL18csric0_hash_kernelILj256ELj32ELj2EfEEviPKiS2_PT2_S2_PiS2_S5_S5_d21rocsparse_index_base_
; %bb.0:
	s_load_dword s0, s[4:5], 0x0
	v_lshlrev_b32_e32 v1, 1, v0
	s_lshl_b32 s1, s6, 3
	v_and_b32_e32 v5, 31, v0
	v_and_b32_e32 v6, 0x1c0, v1
	v_mov_b32_e32 v1, 0x800
	v_lshrrev_b32_e32 v0, 5, v0
	s_and_b32 s1, s1, 0x7fffff8
	v_lshl_or_b32 v16, v6, 2, v1
	v_or_b32_e32 v0, s1, v0
	v_lshl_or_b32 v1, v5, 2, v16
	v_mov_b32_e32 v2, -1
	s_waitcnt lgkmcnt(0)
	v_cmp_gt_i32_e32 vcc, s0, v0
	ds_write2_b32 v1, v2, v2 offset1:32
	s_waitcnt lgkmcnt(0)
	s_and_saveexec_b64 s[0:1], vcc
	s_cbranch_execz .LBB2_46
; %bb.1:
	s_load_dwordx8 s[8:15], s[4:5], 0x28
	v_lshlrev_b32_e32 v0, 2, v0
	s_load_dwordx8 s[16:23], s[4:5], 0x8
	s_load_dword s33, s[4:5], 0x50
	s_waitcnt lgkmcnt(0)
	global_load_dword v2, v0, s[10:11]
	v_mov_b32_e32 v7, s17
	v_mov_b32_e32 v4, s23
	s_waitcnt vmcnt(0)
	v_ashrrev_i32_e32 v3, 31, v2
	v_lshlrev_b64 v[0:1], 2, v[2:3]
	v_add_co_u32_e32 v8, vcc, s16, v0
	v_addc_co_u32_e32 v9, vcc, v7, v1, vcc
	global_load_dwordx2 v[8:9], v[8:9], off
	v_add_co_u32_e32 v10, vcc, s22, v0
	v_addc_co_u32_e32 v11, vcc, v4, v1, vcc
	global_load_dword v4, v[10:11], off
	v_lshlrev_b32_e32 v3, 2, v6
	s_waitcnt vmcnt(1)
	v_subrev_u32_e32 v6, s33, v8
	v_subrev_u32_e32 v7, s33, v9
	v_add_u32_e32 v8, v6, v5
	v_cmp_lt_i32_e32 vcc, v8, v7
	s_and_saveexec_b64 s[0:1], vcc
	s_cbranch_execz .LBB2_11
; %bb.2:
	s_mov_b64 s[2:3], 0
	v_mov_b32_e32 v10, s19
	v_mov_b32_e32 v11, -1
	s_branch .LBB2_4
.LBB2_3:                                ;   in Loop: Header=BB2_4 Depth=1
	s_or_b64 exec, exec, s[6:7]
	v_add_u32_e32 v8, 32, v8
	v_cmp_ge_i32_e32 vcc, v8, v7
	s_or_b64 s[2:3], vcc, s[2:3]
	s_andn2_b64 exec, exec, s[2:3]
	s_cbranch_execz .LBB2_11
.LBB2_4:                                ; =>This Loop Header: Depth=1
                                        ;     Child Loop BB2_7 Depth 2
	v_ashrrev_i32_e32 v9, 31, v8
	v_lshlrev_b64 v[12:13], 2, v[8:9]
	v_add_co_u32_e32 v12, vcc, s18, v12
	v_addc_co_u32_e32 v13, vcc, v10, v13, vcc
	global_load_dword v9, v[12:13], off
	s_waitcnt vmcnt(0)
	v_mul_lo_u32 v12, v9, 39
	v_and_b32_e32 v12, 63, v12
	v_lshl_add_u32 v13, v12, 2, v16
	ds_read_b32 v14, v13
	s_waitcnt lgkmcnt(0)
	v_cmp_ne_u32_e32 vcc, v14, v9
	s_and_saveexec_b64 s[6:7], vcc
	s_cbranch_execz .LBB2_3
; %bb.5:                                ;   in Loop: Header=BB2_4 Depth=1
	s_mov_b64 s[10:11], 0
                                        ; implicit-def: $sgpr24_sgpr25
                                        ; implicit-def: $sgpr28_sgpr29
                                        ; implicit-def: $sgpr26_sgpr27
	s_branch .LBB2_7
.LBB2_6:                                ;   in Loop: Header=BB2_7 Depth=2
	s_or_b64 exec, exec, s[30:31]
	s_and_b64 s[30:31], exec, s[28:29]
	s_or_b64 s[10:11], s[30:31], s[10:11]
	s_andn2_b64 s[24:25], s[24:25], exec
	s_and_b64 s[30:31], s[26:27], exec
	s_or_b64 s[24:25], s[24:25], s[30:31]
	s_andn2_b64 exec, exec, s[10:11]
	s_cbranch_execz .LBB2_9
.LBB2_7:                                ;   Parent Loop BB2_4 Depth=1
                                        ; =>  This Inner Loop Header: Depth=2
	ds_cmpst_rtn_b32 v13, v13, v11, v9
	v_mov_b32_e32 v14, v12
	s_or_b64 s[26:27], s[26:27], exec
	s_or_b64 s[28:29], s[28:29], exec
                                        ; implicit-def: $vgpr12
	s_waitcnt lgkmcnt(0)
	v_cmp_ne_u32_e32 vcc, -1, v13
                                        ; implicit-def: $vgpr13
	s_and_saveexec_b64 s[30:31], vcc
	s_cbranch_execz .LBB2_6
; %bb.8:                                ;   in Loop: Header=BB2_7 Depth=2
	v_add_u32_e32 v12, 1, v14
	v_and_b32_e32 v12, 63, v12
	v_lshl_add_u32 v13, v12, 2, v16
	ds_read_b32 v15, v13
	s_andn2_b64 s[28:29], s[28:29], exec
	s_andn2_b64 s[26:27], s[26:27], exec
	s_waitcnt lgkmcnt(0)
	v_cmp_eq_u32_e32 vcc, v15, v9
	s_and_b64 s[34:35], vcc, exec
	s_or_b64 s[28:29], s[28:29], s[34:35]
	s_branch .LBB2_6
.LBB2_9:                                ;   in Loop: Header=BB2_4 Depth=1
	s_or_b64 exec, exec, s[10:11]
	s_and_saveexec_b64 s[10:11], s[24:25]
	s_xor_b64 s[10:11], exec, s[10:11]
	s_cbranch_execz .LBB2_3
; %bb.10:                               ;   in Loop: Header=BB2_4 Depth=1
	v_lshl_add_u32 v9, v14, 2, v3
	ds_write_b32 v9, v8
	s_branch .LBB2_3
.LBB2_11:
	s_or_b64 exec, exec, s[0:1]
	s_waitcnt vmcnt(0)
	v_cmp_lt_i32_e32 vcc, v6, v4
	v_mov_b32_e32 v17, 0
	s_waitcnt lgkmcnt(0)
	s_and_saveexec_b64 s[6:7], vcc
	s_cbranch_execz .LBB2_33
; %bb.12:
	v_add_u32_e32 v18, -1, v4
	v_subrev_u32_e32 v19, s33, v5
	v_cmp_eq_u32_e64 s[0:1], 31, v5
	s_mov_b64 s[10:11], 0
	v_mov_b32_e32 v17, 0
	v_mov_b32_e32 v20, s19
	;; [unrolled: 1-line block ×6, first 2 shown]
	s_branch .LBB2_15
.LBB2_13:                               ;   in Loop: Header=BB2_15 Depth=1
	s_or_b64 exec, exec, s[26:27]
.LBB2_14:                               ;   in Loop: Header=BB2_15 Depth=1
	s_or_b64 exec, exec, s[24:25]
	v_add_u32_e32 v6, 1, v6
	v_cmp_ge_i32_e32 vcc, v6, v4
	s_xor_b64 s[2:3], s[2:3], -1
	s_or_b64 s[2:3], s[2:3], vcc
	s_and_b64 s[2:3], exec, s[2:3]
	s_or_b64 s[10:11], s[2:3], s[10:11]
	s_andn2_b64 exec, exec, s[10:11]
	s_cbranch_execz .LBB2_32
.LBB2_15:                               ; =>This Loop Header: Depth=1
                                        ;     Child Loop BB2_16 Depth 2
                                        ;     Child Loop BB2_22 Depth 2
                                        ;       Child Loop BB2_25 Depth 3
	v_ashrrev_i32_e32 v7, 31, v6
	v_lshlrev_b64 v[8:9], 2, v[6:7]
	v_add_co_u32_e32 v10, vcc, s18, v8
	v_addc_co_u32_e32 v11, vcc, v20, v9, vcc
	global_load_dword v10, v[10:11], off
	v_add_co_u32_e32 v8, vcc, s20, v8
	v_addc_co_u32_e32 v9, vcc, v21, v9, vcc
	global_load_dword v7, v[8:9], off
	s_mov_b64 s[2:3], 0
	s_waitcnt vmcnt(1)
	v_subrev_u32_e32 v10, s33, v10
	v_ashrrev_i32_e32 v11, 31, v10
	v_lshlrev_b64 v[10:11], 2, v[10:11]
	v_add_co_u32_e32 v14, vcc, s16, v10
	v_addc_co_u32_e32 v15, vcc, v22, v11, vcc
	v_add_co_u32_e32 v26, vcc, s22, v10
	v_addc_co_u32_e32 v27, vcc, v23, v11, vcc
	global_load_dword v12, v[14:15], off
	global_load_dword v13, v[26:27], off
	v_add_co_u32_e32 v10, vcc, s8, v10
	v_addc_co_u32_e32 v11, vcc, v24, v11, vcc
.LBB2_16:                               ;   Parent Loop BB2_15 Depth=1
                                        ; =>  This Inner Loop Header: Depth=2
	global_load_dword v14, v[10:11], off glc
	s_waitcnt vmcnt(0)
	v_cmp_ne_u32_e32 vcc, 0, v14
	s_or_b64 s[2:3], vcc, s[2:3]
	s_andn2_b64 exec, exec, s[2:3]
	s_cbranch_execnz .LBB2_16
; %bb.17:                               ;   in Loop: Header=BB2_15 Depth=1
	s_or_b64 exec, exec, s[2:3]
	v_cmp_eq_u32_e32 vcc, -1, v13
	v_cndmask_b32_e32 v10, v13, v18, vcc
	v_ashrrev_i32_e32 v11, 31, v10
	v_lshlrev_b64 v[14:15], 2, v[10:11]
	v_add_co_u32_e32 v14, vcc, s20, v14
	v_addc_co_u32_e32 v15, vcc, v21, v15, vcc
	buffer_wbinvl1_vol
	global_load_dword v11, v[14:15], off
	s_waitcnt vmcnt(0)
	v_cmp_neq_f32_e64 s[2:3], 0, v11
	s_and_saveexec_b64 s[24:25], s[2:3]
	s_cbranch_execz .LBB2_14
; %bb.18:                               ;   in Loop: Header=BB2_15 Depth=1
	v_add_u32_e32 v12, v19, v12
	v_cmp_lt_i32_e32 vcc, v12, v10
	v_mov_b32_e32 v25, 0
	s_and_saveexec_b64 s[26:27], vcc
	s_cbranch_execz .LBB2_30
; %bb.19:                               ;   in Loop: Header=BB2_15 Depth=1
	s_mov_b64 s[28:29], 0
	v_mov_b32_e32 v25, 0
	s_branch .LBB2_22
.LBB2_20:                               ;   in Loop: Header=BB2_22 Depth=2
	s_or_b64 exec, exec, s[34:35]
.LBB2_21:                               ;   in Loop: Header=BB2_22 Depth=2
	s_or_b64 exec, exec, s[30:31]
	v_add_u32_e32 v12, 32, v12
	v_cmp_ge_i32_e32 vcc, v12, v10
	s_or_b64 s[28:29], vcc, s[28:29]
	s_andn2_b64 exec, exec, s[28:29]
	s_cbranch_execz .LBB2_29
.LBB2_22:                               ;   Parent Loop BB2_15 Depth=1
                                        ; =>  This Loop Header: Depth=2
                                        ;       Child Loop BB2_25 Depth 3
	v_ashrrev_i32_e32 v13, 31, v12
	v_lshlrev_b64 v[14:15], 2, v[12:13]
	v_add_co_u32_e32 v26, vcc, s18, v14
	v_addc_co_u32_e32 v27, vcc, v20, v15, vcc
	global_load_dword v13, v[26:27], off
	s_waitcnt vmcnt(0)
	v_mul_lo_u32 v26, v13, 39
	v_and_b32_e32 v28, 63, v26
	v_lshl_add_u32 v26, v28, 2, v16
	ds_read_b32 v27, v26
	s_waitcnt lgkmcnt(0)
	v_cmp_ne_u32_e32 vcc, -1, v27
	s_and_saveexec_b64 s[30:31], vcc
	s_cbranch_execz .LBB2_21
; %bb.23:                               ;   in Loop: Header=BB2_22 Depth=2
	s_mov_b64 s[34:35], 0
                                        ; implicit-def: $sgpr36_sgpr37
                                        ; implicit-def: $sgpr40_sgpr41
                                        ; implicit-def: $sgpr38_sgpr39
	s_branch .LBB2_25
.LBB2_24:                               ;   in Loop: Header=BB2_25 Depth=3
	s_or_b64 exec, exec, s[42:43]
	s_and_b64 s[42:43], exec, s[40:41]
	s_or_b64 s[34:35], s[42:43], s[34:35]
	s_andn2_b64 s[36:37], s[36:37], exec
	s_and_b64 s[42:43], s[38:39], exec
	s_or_b64 s[36:37], s[36:37], s[42:43]
	s_andn2_b64 exec, exec, s[34:35]
	s_cbranch_execz .LBB2_27
.LBB2_25:                               ;   Parent Loop BB2_15 Depth=1
                                        ;     Parent Loop BB2_22 Depth=2
                                        ; =>    This Inner Loop Header: Depth=3
	v_mov_b32_e32 v26, v28
	v_cmp_ne_u32_e32 vcc, v27, v13
	s_or_b64 s[38:39], s[38:39], exec
	s_or_b64 s[40:41], s[40:41], exec
                                        ; implicit-def: $vgpr28
                                        ; implicit-def: $vgpr27
	s_and_saveexec_b64 s[42:43], vcc
	s_cbranch_execz .LBB2_24
; %bb.26:                               ;   in Loop: Header=BB2_25 Depth=3
	v_add_u32_e32 v27, 1, v26
	v_and_b32_e32 v28, 63, v27
	v_lshl_add_u32 v27, v28, 2, v16
	ds_read_b32 v27, v27
	s_andn2_b64 s[40:41], s[40:41], exec
	s_andn2_b64 s[38:39], s[38:39], exec
	s_waitcnt lgkmcnt(0)
	v_cmp_eq_u32_e32 vcc, -1, v27
	s_and_b64 s[44:45], vcc, exec
	s_or_b64 s[40:41], s[40:41], s[44:45]
	s_branch .LBB2_24
.LBB2_27:                               ;   in Loop: Header=BB2_22 Depth=2
	s_or_b64 exec, exec, s[34:35]
	s_and_saveexec_b64 s[34:35], s[36:37]
	s_xor_b64 s[34:35], exec, s[34:35]
	s_cbranch_execz .LBB2_20
; %bb.28:                               ;   in Loop: Header=BB2_22 Depth=2
	v_lshl_add_u32 v13, v26, 2, v3
	ds_read_b32 v26, v13
	v_add_co_u32_e32 v14, vcc, s20, v14
	v_addc_co_u32_e32 v15, vcc, v21, v15, vcc
	s_waitcnt lgkmcnt(0)
	v_ashrrev_i32_e32 v27, 31, v26
	v_lshlrev_b64 v[26:27], 2, v[26:27]
	v_add_co_u32_e32 v26, vcc, s20, v26
	v_addc_co_u32_e32 v27, vcc, v21, v27, vcc
	global_load_dword v13, v[14:15], off
	global_load_dword v28, v[26:27], off
	s_waitcnt vmcnt(0)
	v_fmac_f32_e32 v25, v13, v28
	s_branch .LBB2_20
.LBB2_29:                               ;   in Loop: Header=BB2_15 Depth=1
	s_or_b64 exec, exec, s[28:29]
.LBB2_30:                               ;   in Loop: Header=BB2_15 Depth=1
	s_or_b64 exec, exec, s[26:27]
	v_mov_b32_dpp v10, v25 row_shr:1 row_mask:0xf bank_mask:0xf
	v_add_f32_e32 v10, v25, v10
	s_nop 1
	v_mov_b32_dpp v12, v10 row_shr:2 row_mask:0xf bank_mask:0xf
	v_add_f32_e32 v10, v10, v12
	s_nop 1
	;; [unrolled: 3-line block ×4, first 2 shown]
	v_mov_b32_dpp v12, v10 row_bcast:15 row_mask:0xa bank_mask:0xf
	s_and_saveexec_b64 s[26:27], s[0:1]
	s_cbranch_execz .LBB2_13
; %bb.31:                               ;   in Loop: Header=BB2_15 Depth=1
	v_div_scale_f32 v13, s[28:29], v11, v11, 1.0
	v_rcp_f32_e32 v14, v13
	v_div_scale_f32 v15, vcc, 1.0, v11, 1.0
	v_add_f32_e32 v10, v10, v12
	v_fma_f32 v25, -v13, v14, 1.0
	v_fmac_f32_e32 v14, v25, v14
	v_mul_f32_e32 v25, v15, v14
	v_fma_f32 v26, -v13, v25, v15
	v_fmac_f32_e32 v25, v26, v14
	v_fma_f32 v13, -v13, v25, v15
	v_div_fmas_f32 v13, v13, v14, v25
	v_div_fixup_f32 v11, v13, v11, 1.0
	v_sub_f32_e32 v7, v7, v10
	v_mul_f32_e32 v7, v11, v7
	v_fmac_f32_e32 v17, v7, v7
	global_store_dword v[8:9], v7, off
	s_branch .LBB2_13
.LBB2_32:
	s_or_b64 exec, exec, s[10:11]
.LBB2_33:
	s_or_b64 exec, exec, s[6:7]
	v_cmp_eq_u32_e32 vcc, 31, v5
	v_cmp_lt_i32_e64 s[0:1], -1, v4
	s_and_b64 s[0:1], vcc, s[0:1]
	s_and_saveexec_b64 s[6:7], s[0:1]
	s_cbranch_execz .LBB2_44
; %bb.34:
	v_mov_b32_e32 v5, 0
	v_lshlrev_b64 v[4:5], 2, v[4:5]
	v_mov_b32_e32 v3, s21
	v_add_co_u32_e64 v4, s[0:1], s20, v4
	v_addc_co_u32_e64 v5, s[0:1], v3, v5, s[0:1]
	global_load_dword v3, v[4:5], off
	s_load_dwordx2 s[0:1], s[4:5], 0x48
	v_add_u32_e32 v2, s33, v2
	s_waitcnt lgkmcnt(0)
	v_mul_f64 v[6:7], s[0:1], s[0:1]
	s_waitcnt vmcnt(0)
	v_sub_f32_e32 v3, v3, v17
	v_cvt_f64_f32_e32 v[8:9], v3
	v_cmp_ge_f64_e64 s[0:1], v[6:7], v[8:9]
	s_and_saveexec_b64 s[2:3], s[0:1]
	s_cbranch_execz .LBB2_39
; %bb.35:
	s_mov_b64 s[0:1], exec
	s_brev_b32 s4, -2
.LBB2_36:                               ; =>This Inner Loop Header: Depth=1
	s_ff1_i32_b64 s5, s[0:1]
	v_readlane_b32 s16, v2, s5
	s_lshl_b64 s[10:11], 1, s5
	s_min_i32 s4, s4, s16
	s_andn2_b64 s[0:1], s[0:1], s[10:11]
	s_cmp_lg_u64 s[0:1], 0
	s_cbranch_scc1 .LBB2_36
; %bb.37:
	v_mbcnt_lo_u32_b32 v6, exec_lo, 0
	v_mbcnt_hi_u32_b32 v6, exec_hi, v6
	v_cmp_eq_u32_e64 s[0:1], 0, v6
	s_and_saveexec_b64 s[10:11], s[0:1]
	s_xor_b64 s[10:11], exec, s[10:11]
	s_cbranch_execz .LBB2_39
; %bb.38:
	v_mov_b32_e32 v6, 0
	v_mov_b32_e32 v7, s4
	global_atomic_smin v6, v7, s[14:15]
.LBB2_39:
	s_or_b64 exec, exec, s[2:3]
	v_cmp_gt_f32_e64 s[0:1], 0, v3
	v_cndmask_b32_e64 v3, v3, -v3, s[0:1]
	s_mov_b32 s0, 0xf800000
	v_mul_f32_e32 v6, 0x4f800000, v3
	v_cmp_gt_f32_e64 s[0:1], s0, v3
	v_cndmask_b32_e64 v3, v3, v6, s[0:1]
	v_sqrt_f32_e32 v6, v3
	v_add_u32_e32 v7, -1, v6
	v_fma_f32 v8, -v7, v6, v3
	v_cmp_ge_f32_e64 s[2:3], 0, v8
	v_add_u32_e32 v8, 1, v6
	v_cndmask_b32_e64 v7, v6, v7, s[2:3]
	v_fma_f32 v6, -v8, v6, v3
	v_cmp_lt_f32_e64 s[2:3], 0, v6
	v_cndmask_b32_e64 v6, v7, v8, s[2:3]
	v_mul_f32_e32 v7, 0x37800000, v6
	v_cndmask_b32_e64 v6, v6, v7, s[0:1]
	v_mov_b32_e32 v7, 0x260
	v_cmp_class_f32_e64 s[0:1], v3, v7
	v_cndmask_b32_e64 v3, v6, v3, s[0:1]
	v_cmp_eq_f32_e64 s[0:1], 0, v3
	global_store_dword v[4:5], v3, off
	s_and_b64 exec, exec, s[0:1]
	s_cbranch_execz .LBB2_44
; %bb.40:
	s_mov_b64 s[0:1], exec
	s_brev_b32 s2, -2
.LBB2_41:                               ; =>This Inner Loop Header: Depth=1
	s_ff1_i32_b64 s3, s[0:1]
	v_readlane_b32 s10, v2, s3
	s_lshl_b64 s[4:5], 1, s3
	s_min_i32 s2, s2, s10
	s_andn2_b64 s[0:1], s[0:1], s[4:5]
	s_cmp_lg_u64 s[0:1], 0
	s_cbranch_scc1 .LBB2_41
; %bb.42:
	v_mbcnt_lo_u32_b32 v2, exec_lo, 0
	v_mbcnt_hi_u32_b32 v2, exec_hi, v2
	v_cmp_eq_u32_e64 s[0:1], 0, v2
	s_and_saveexec_b64 s[4:5], s[0:1]
	s_xor_b64 s[4:5], exec, s[4:5]
	s_cbranch_execz .LBB2_44
; %bb.43:
	v_mov_b32_e32 v2, 0
	v_mov_b32_e32 v3, s2
	global_atomic_smin v2, v3, s[12:13]
.LBB2_44:
	s_or_b64 exec, exec, s[6:7]
	s_and_b64 exec, exec, vcc
	s_cbranch_execz .LBB2_46
; %bb.45:
	v_mov_b32_e32 v2, s9
	v_add_co_u32_e32 v0, vcc, s8, v0
	v_addc_co_u32_e32 v1, vcc, v2, v1, vcc
	v_mov_b32_e32 v2, 1
	s_waitcnt vmcnt(0)
	global_store_dword v[0:1], v2, off
.LBB2_46:
	s_endpgm
	.section	.rodata,"a",@progbits
	.p2align	6, 0x0
	.amdhsa_kernel _ZN9rocsparseL18csric0_hash_kernelILj256ELj32ELj2EfEEviPKiS2_PT2_S2_PiS2_S5_S5_d21rocsparse_index_base_
		.amdhsa_group_segment_fixed_size 4096
		.amdhsa_private_segment_fixed_size 0
		.amdhsa_kernarg_size 84
		.amdhsa_user_sgpr_count 6
		.amdhsa_user_sgpr_private_segment_buffer 1
		.amdhsa_user_sgpr_dispatch_ptr 0
		.amdhsa_user_sgpr_queue_ptr 0
		.amdhsa_user_sgpr_kernarg_segment_ptr 1
		.amdhsa_user_sgpr_dispatch_id 0
		.amdhsa_user_sgpr_flat_scratch_init 0
		.amdhsa_user_sgpr_kernarg_preload_length 0
		.amdhsa_user_sgpr_kernarg_preload_offset 0
		.amdhsa_user_sgpr_private_segment_size 0
		.amdhsa_uses_dynamic_stack 0
		.amdhsa_system_sgpr_private_segment_wavefront_offset 0
		.amdhsa_system_sgpr_workgroup_id_x 1
		.amdhsa_system_sgpr_workgroup_id_y 0
		.amdhsa_system_sgpr_workgroup_id_z 0
		.amdhsa_system_sgpr_workgroup_info 0
		.amdhsa_system_vgpr_workitem_id 0
		.amdhsa_next_free_vgpr 29
		.amdhsa_next_free_sgpr 46
		.amdhsa_accum_offset 32
		.amdhsa_reserve_vcc 1
		.amdhsa_reserve_flat_scratch 0
		.amdhsa_float_round_mode_32 0
		.amdhsa_float_round_mode_16_64 0
		.amdhsa_float_denorm_mode_32 3
		.amdhsa_float_denorm_mode_16_64 3
		.amdhsa_dx10_clamp 1
		.amdhsa_ieee_mode 1
		.amdhsa_fp16_overflow 0
		.amdhsa_tg_split 0
		.amdhsa_exception_fp_ieee_invalid_op 0
		.amdhsa_exception_fp_denorm_src 0
		.amdhsa_exception_fp_ieee_div_zero 0
		.amdhsa_exception_fp_ieee_overflow 0
		.amdhsa_exception_fp_ieee_underflow 0
		.amdhsa_exception_fp_ieee_inexact 0
		.amdhsa_exception_int_div_zero 0
	.end_amdhsa_kernel
	.section	.text._ZN9rocsparseL18csric0_hash_kernelILj256ELj32ELj2EfEEviPKiS2_PT2_S2_PiS2_S5_S5_d21rocsparse_index_base_,"axG",@progbits,_ZN9rocsparseL18csric0_hash_kernelILj256ELj32ELj2EfEEviPKiS2_PT2_S2_PiS2_S5_S5_d21rocsparse_index_base_,comdat
.Lfunc_end2:
	.size	_ZN9rocsparseL18csric0_hash_kernelILj256ELj32ELj2EfEEviPKiS2_PT2_S2_PiS2_S5_S5_d21rocsparse_index_base_, .Lfunc_end2-_ZN9rocsparseL18csric0_hash_kernelILj256ELj32ELj2EfEEviPKiS2_PT2_S2_PiS2_S5_S5_d21rocsparse_index_base_
                                        ; -- End function
	.section	.AMDGPU.csdata,"",@progbits
; Kernel info:
; codeLenInByte = 1888
; NumSgprs: 50
; NumVgprs: 29
; NumAgprs: 0
; TotalNumVgprs: 29
; ScratchSize: 0
; MemoryBound: 0
; FloatMode: 240
; IeeeMode: 1
; LDSByteSize: 4096 bytes/workgroup (compile time only)
; SGPRBlocks: 6
; VGPRBlocks: 3
; NumSGPRsForWavesPerEU: 50
; NumVGPRsForWavesPerEU: 29
; AccumOffset: 32
; Occupancy: 8
; WaveLimiterHint : 1
; COMPUTE_PGM_RSRC2:SCRATCH_EN: 0
; COMPUTE_PGM_RSRC2:USER_SGPR: 6
; COMPUTE_PGM_RSRC2:TRAP_HANDLER: 0
; COMPUTE_PGM_RSRC2:TGID_X_EN: 1
; COMPUTE_PGM_RSRC2:TGID_Y_EN: 0
; COMPUTE_PGM_RSRC2:TGID_Z_EN: 0
; COMPUTE_PGM_RSRC2:TIDIG_COMP_CNT: 0
; COMPUTE_PGM_RSRC3_GFX90A:ACCUM_OFFSET: 7
; COMPUTE_PGM_RSRC3_GFX90A:TG_SPLIT: 0
	.section	.text._ZN9rocsparseL18csric0_hash_kernelILj256ELj32ELj4EfEEviPKiS2_PT2_S2_PiS2_S5_S5_d21rocsparse_index_base_,"axG",@progbits,_ZN9rocsparseL18csric0_hash_kernelILj256ELj32ELj4EfEEviPKiS2_PT2_S2_PiS2_S5_S5_d21rocsparse_index_base_,comdat
	.globl	_ZN9rocsparseL18csric0_hash_kernelILj256ELj32ELj4EfEEviPKiS2_PT2_S2_PiS2_S5_S5_d21rocsparse_index_base_ ; -- Begin function _ZN9rocsparseL18csric0_hash_kernelILj256ELj32ELj4EfEEviPKiS2_PT2_S2_PiS2_S5_S5_d21rocsparse_index_base_
	.p2align	8
	.type	_ZN9rocsparseL18csric0_hash_kernelILj256ELj32ELj4EfEEviPKiS2_PT2_S2_PiS2_S5_S5_d21rocsparse_index_base_,@function
_ZN9rocsparseL18csric0_hash_kernelILj256ELj32ELj4EfEEviPKiS2_PT2_S2_PiS2_S5_S5_d21rocsparse_index_base_: ; @_ZN9rocsparseL18csric0_hash_kernelILj256ELj32ELj4EfEEviPKiS2_PT2_S2_PiS2_S5_S5_d21rocsparse_index_base_
; %bb.0:
	s_load_dword s0, s[4:5], 0x0
	v_lshlrev_b32_e32 v1, 2, v0
	s_lshl_b32 s1, s6, 3
	v_and_b32_e32 v5, 31, v0
	v_and_b32_e32 v6, 0x380, v1
	v_mov_b32_e32 v1, 0x1000
	v_lshrrev_b32_e32 v0, 5, v0
	s_and_b32 s1, s1, 0x7fffff8
	v_lshl_or_b32 v16, v6, 2, v1
	v_or_b32_e32 v0, s1, v0
	v_lshl_or_b32 v1, v5, 2, v16
	v_mov_b32_e32 v2, -1
	s_waitcnt lgkmcnt(0)
	v_cmp_gt_i32_e32 vcc, s0, v0
	ds_write2_b32 v1, v2, v2 offset1:32
	ds_write2_b32 v1, v2, v2 offset0:64 offset1:96
	s_waitcnt lgkmcnt(0)
	s_and_saveexec_b64 s[0:1], vcc
	s_cbranch_execz .LBB3_46
; %bb.1:
	s_load_dwordx8 s[8:15], s[4:5], 0x28
	v_lshlrev_b32_e32 v0, 2, v0
	s_load_dwordx8 s[16:23], s[4:5], 0x8
	s_load_dword s33, s[4:5], 0x50
	s_waitcnt lgkmcnt(0)
	global_load_dword v2, v0, s[10:11]
	v_mov_b32_e32 v7, s17
	v_mov_b32_e32 v4, s23
	s_waitcnt vmcnt(0)
	v_ashrrev_i32_e32 v3, 31, v2
	v_lshlrev_b64 v[0:1], 2, v[2:3]
	v_add_co_u32_e32 v8, vcc, s16, v0
	v_addc_co_u32_e32 v9, vcc, v7, v1, vcc
	global_load_dwordx2 v[8:9], v[8:9], off
	v_add_co_u32_e32 v10, vcc, s22, v0
	v_addc_co_u32_e32 v11, vcc, v4, v1, vcc
	global_load_dword v4, v[10:11], off
	v_lshlrev_b32_e32 v3, 2, v6
	s_waitcnt vmcnt(1)
	v_subrev_u32_e32 v6, s33, v8
	v_subrev_u32_e32 v7, s33, v9
	v_add_u32_e32 v8, v6, v5
	v_cmp_lt_i32_e32 vcc, v8, v7
	s_and_saveexec_b64 s[0:1], vcc
	s_cbranch_execz .LBB3_11
; %bb.2:
	s_mov_b64 s[2:3], 0
	v_mov_b32_e32 v10, s19
	s_movk_i32 s34, 0x67
	v_mov_b32_e32 v11, -1
	s_branch .LBB3_4
.LBB3_3:                                ;   in Loop: Header=BB3_4 Depth=1
	s_or_b64 exec, exec, s[6:7]
	v_add_u32_e32 v8, 32, v8
	v_cmp_ge_i32_e32 vcc, v8, v7
	s_or_b64 s[2:3], vcc, s[2:3]
	s_andn2_b64 exec, exec, s[2:3]
	s_cbranch_execz .LBB3_11
.LBB3_4:                                ; =>This Loop Header: Depth=1
                                        ;     Child Loop BB3_7 Depth 2
	v_ashrrev_i32_e32 v9, 31, v8
	v_lshlrev_b64 v[12:13], 2, v[8:9]
	v_add_co_u32_e32 v12, vcc, s18, v12
	v_addc_co_u32_e32 v13, vcc, v10, v13, vcc
	global_load_dword v9, v[12:13], off
	s_waitcnt vmcnt(0)
	v_mul_lo_u32 v12, v9, s34
	v_and_b32_e32 v12, 0x7f, v12
	v_lshl_add_u32 v13, v12, 2, v16
	ds_read_b32 v14, v13
	s_waitcnt lgkmcnt(0)
	v_cmp_ne_u32_e32 vcc, v14, v9
	s_and_saveexec_b64 s[6:7], vcc
	s_cbranch_execz .LBB3_3
; %bb.5:                                ;   in Loop: Header=BB3_4 Depth=1
	s_mov_b64 s[10:11], 0
                                        ; implicit-def: $sgpr24_sgpr25
                                        ; implicit-def: $sgpr28_sgpr29
                                        ; implicit-def: $sgpr26_sgpr27
	s_branch .LBB3_7
.LBB3_6:                                ;   in Loop: Header=BB3_7 Depth=2
	s_or_b64 exec, exec, s[30:31]
	s_and_b64 s[30:31], exec, s[28:29]
	s_or_b64 s[10:11], s[30:31], s[10:11]
	s_andn2_b64 s[24:25], s[24:25], exec
	s_and_b64 s[30:31], s[26:27], exec
	s_or_b64 s[24:25], s[24:25], s[30:31]
	s_andn2_b64 exec, exec, s[10:11]
	s_cbranch_execz .LBB3_9
.LBB3_7:                                ;   Parent Loop BB3_4 Depth=1
                                        ; =>  This Inner Loop Header: Depth=2
	ds_cmpst_rtn_b32 v13, v13, v11, v9
	v_mov_b32_e32 v14, v12
	s_or_b64 s[26:27], s[26:27], exec
	s_or_b64 s[28:29], s[28:29], exec
                                        ; implicit-def: $vgpr12
	s_waitcnt lgkmcnt(0)
	v_cmp_ne_u32_e32 vcc, -1, v13
                                        ; implicit-def: $vgpr13
	s_and_saveexec_b64 s[30:31], vcc
	s_cbranch_execz .LBB3_6
; %bb.8:                                ;   in Loop: Header=BB3_7 Depth=2
	v_add_u32_e32 v12, 1, v14
	v_and_b32_e32 v12, 0x7f, v12
	v_lshl_add_u32 v13, v12, 2, v16
	ds_read_b32 v15, v13
	s_andn2_b64 s[28:29], s[28:29], exec
	s_andn2_b64 s[26:27], s[26:27], exec
	s_waitcnt lgkmcnt(0)
	v_cmp_eq_u32_e32 vcc, v15, v9
	s_and_b64 s[36:37], vcc, exec
	s_or_b64 s[28:29], s[28:29], s[36:37]
	s_branch .LBB3_6
.LBB3_9:                                ;   in Loop: Header=BB3_4 Depth=1
	s_or_b64 exec, exec, s[10:11]
	s_and_saveexec_b64 s[10:11], s[24:25]
	s_xor_b64 s[10:11], exec, s[10:11]
	s_cbranch_execz .LBB3_3
; %bb.10:                               ;   in Loop: Header=BB3_4 Depth=1
	v_lshl_add_u32 v9, v14, 2, v3
	ds_write_b32 v9, v8
	s_branch .LBB3_3
.LBB3_11:
	s_or_b64 exec, exec, s[0:1]
	s_waitcnt vmcnt(0)
	v_cmp_lt_i32_e32 vcc, v6, v4
	v_mov_b32_e32 v17, 0
	s_waitcnt lgkmcnt(0)
	s_and_saveexec_b64 s[6:7], vcc
	s_cbranch_execz .LBB3_33
; %bb.12:
	v_add_u32_e32 v18, -1, v4
	v_subrev_u32_e32 v19, s33, v5
	v_cmp_eq_u32_e64 s[0:1], 31, v5
	s_mov_b64 s[10:11], 0
	v_mov_b32_e32 v17, 0
	v_mov_b32_e32 v20, s19
	;; [unrolled: 1-line block ×6, first 2 shown]
	s_movk_i32 s17, 0x67
	s_branch .LBB3_15
.LBB3_13:                               ;   in Loop: Header=BB3_15 Depth=1
	s_or_b64 exec, exec, s[26:27]
.LBB3_14:                               ;   in Loop: Header=BB3_15 Depth=1
	s_or_b64 exec, exec, s[24:25]
	v_add_u32_e32 v6, 1, v6
	v_cmp_ge_i32_e32 vcc, v6, v4
	s_xor_b64 s[2:3], s[2:3], -1
	s_or_b64 s[2:3], s[2:3], vcc
	s_and_b64 s[2:3], exec, s[2:3]
	s_or_b64 s[10:11], s[2:3], s[10:11]
	s_andn2_b64 exec, exec, s[10:11]
	s_cbranch_execz .LBB3_32
.LBB3_15:                               ; =>This Loop Header: Depth=1
                                        ;     Child Loop BB3_16 Depth 2
                                        ;     Child Loop BB3_22 Depth 2
                                        ;       Child Loop BB3_25 Depth 3
	v_ashrrev_i32_e32 v7, 31, v6
	v_lshlrev_b64 v[8:9], 2, v[6:7]
	v_add_co_u32_e32 v10, vcc, s18, v8
	v_addc_co_u32_e32 v11, vcc, v20, v9, vcc
	global_load_dword v10, v[10:11], off
	v_add_co_u32_e32 v8, vcc, s20, v8
	v_addc_co_u32_e32 v9, vcc, v21, v9, vcc
	global_load_dword v7, v[8:9], off
	s_mov_b64 s[2:3], 0
	s_waitcnt vmcnt(1)
	v_subrev_u32_e32 v10, s33, v10
	v_ashrrev_i32_e32 v11, 31, v10
	v_lshlrev_b64 v[10:11], 2, v[10:11]
	v_add_co_u32_e32 v14, vcc, s16, v10
	v_addc_co_u32_e32 v15, vcc, v22, v11, vcc
	v_add_co_u32_e32 v26, vcc, s22, v10
	v_addc_co_u32_e32 v27, vcc, v23, v11, vcc
	global_load_dword v12, v[14:15], off
	global_load_dword v13, v[26:27], off
	v_add_co_u32_e32 v10, vcc, s8, v10
	v_addc_co_u32_e32 v11, vcc, v24, v11, vcc
.LBB3_16:                               ;   Parent Loop BB3_15 Depth=1
                                        ; =>  This Inner Loop Header: Depth=2
	global_load_dword v14, v[10:11], off glc
	s_waitcnt vmcnt(0)
	v_cmp_ne_u32_e32 vcc, 0, v14
	s_or_b64 s[2:3], vcc, s[2:3]
	s_andn2_b64 exec, exec, s[2:3]
	s_cbranch_execnz .LBB3_16
; %bb.17:                               ;   in Loop: Header=BB3_15 Depth=1
	s_or_b64 exec, exec, s[2:3]
	v_cmp_eq_u32_e32 vcc, -1, v13
	v_cndmask_b32_e32 v10, v13, v18, vcc
	v_ashrrev_i32_e32 v11, 31, v10
	v_lshlrev_b64 v[14:15], 2, v[10:11]
	v_add_co_u32_e32 v14, vcc, s20, v14
	v_addc_co_u32_e32 v15, vcc, v21, v15, vcc
	buffer_wbinvl1_vol
	global_load_dword v11, v[14:15], off
	s_waitcnt vmcnt(0)
	v_cmp_neq_f32_e64 s[2:3], 0, v11
	s_and_saveexec_b64 s[24:25], s[2:3]
	s_cbranch_execz .LBB3_14
; %bb.18:                               ;   in Loop: Header=BB3_15 Depth=1
	v_add_u32_e32 v12, v19, v12
	v_cmp_lt_i32_e32 vcc, v12, v10
	v_mov_b32_e32 v25, 0
	s_and_saveexec_b64 s[26:27], vcc
	s_cbranch_execz .LBB3_30
; %bb.19:                               ;   in Loop: Header=BB3_15 Depth=1
	s_mov_b64 s[28:29], 0
	v_mov_b32_e32 v25, 0
	s_branch .LBB3_22
.LBB3_20:                               ;   in Loop: Header=BB3_22 Depth=2
	s_or_b64 exec, exec, s[34:35]
.LBB3_21:                               ;   in Loop: Header=BB3_22 Depth=2
	s_or_b64 exec, exec, s[30:31]
	v_add_u32_e32 v12, 32, v12
	v_cmp_ge_i32_e32 vcc, v12, v10
	s_or_b64 s[28:29], vcc, s[28:29]
	s_andn2_b64 exec, exec, s[28:29]
	s_cbranch_execz .LBB3_29
.LBB3_22:                               ;   Parent Loop BB3_15 Depth=1
                                        ; =>  This Loop Header: Depth=2
                                        ;       Child Loop BB3_25 Depth 3
	v_ashrrev_i32_e32 v13, 31, v12
	v_lshlrev_b64 v[14:15], 2, v[12:13]
	v_add_co_u32_e32 v26, vcc, s18, v14
	v_addc_co_u32_e32 v27, vcc, v20, v15, vcc
	global_load_dword v13, v[26:27], off
	s_waitcnt vmcnt(0)
	v_mul_lo_u32 v26, v13, s17
	v_and_b32_e32 v28, 0x7f, v26
	v_lshl_add_u32 v26, v28, 2, v16
	ds_read_b32 v27, v26
	s_waitcnt lgkmcnt(0)
	v_cmp_ne_u32_e32 vcc, -1, v27
	s_and_saveexec_b64 s[30:31], vcc
	s_cbranch_execz .LBB3_21
; %bb.23:                               ;   in Loop: Header=BB3_22 Depth=2
	s_mov_b64 s[34:35], 0
                                        ; implicit-def: $sgpr36_sgpr37
                                        ; implicit-def: $sgpr40_sgpr41
                                        ; implicit-def: $sgpr38_sgpr39
	s_branch .LBB3_25
.LBB3_24:                               ;   in Loop: Header=BB3_25 Depth=3
	s_or_b64 exec, exec, s[42:43]
	s_and_b64 s[42:43], exec, s[40:41]
	s_or_b64 s[34:35], s[42:43], s[34:35]
	s_andn2_b64 s[36:37], s[36:37], exec
	s_and_b64 s[42:43], s[38:39], exec
	s_or_b64 s[36:37], s[36:37], s[42:43]
	s_andn2_b64 exec, exec, s[34:35]
	s_cbranch_execz .LBB3_27
.LBB3_25:                               ;   Parent Loop BB3_15 Depth=1
                                        ;     Parent Loop BB3_22 Depth=2
                                        ; =>    This Inner Loop Header: Depth=3
	v_mov_b32_e32 v26, v28
	v_cmp_ne_u32_e32 vcc, v27, v13
	s_or_b64 s[38:39], s[38:39], exec
	s_or_b64 s[40:41], s[40:41], exec
                                        ; implicit-def: $vgpr28
                                        ; implicit-def: $vgpr27
	s_and_saveexec_b64 s[42:43], vcc
	s_cbranch_execz .LBB3_24
; %bb.26:                               ;   in Loop: Header=BB3_25 Depth=3
	v_add_u32_e32 v27, 1, v26
	v_and_b32_e32 v28, 0x7f, v27
	v_lshl_add_u32 v27, v28, 2, v16
	ds_read_b32 v27, v27
	s_andn2_b64 s[40:41], s[40:41], exec
	s_andn2_b64 s[38:39], s[38:39], exec
	s_waitcnt lgkmcnt(0)
	v_cmp_eq_u32_e32 vcc, -1, v27
	s_and_b64 s[44:45], vcc, exec
	s_or_b64 s[40:41], s[40:41], s[44:45]
	s_branch .LBB3_24
.LBB3_27:                               ;   in Loop: Header=BB3_22 Depth=2
	s_or_b64 exec, exec, s[34:35]
	s_and_saveexec_b64 s[34:35], s[36:37]
	s_xor_b64 s[34:35], exec, s[34:35]
	s_cbranch_execz .LBB3_20
; %bb.28:                               ;   in Loop: Header=BB3_22 Depth=2
	v_lshl_add_u32 v13, v26, 2, v3
	ds_read_b32 v26, v13
	v_add_co_u32_e32 v14, vcc, s20, v14
	v_addc_co_u32_e32 v15, vcc, v21, v15, vcc
	s_waitcnt lgkmcnt(0)
	v_ashrrev_i32_e32 v27, 31, v26
	v_lshlrev_b64 v[26:27], 2, v[26:27]
	v_add_co_u32_e32 v26, vcc, s20, v26
	v_addc_co_u32_e32 v27, vcc, v21, v27, vcc
	global_load_dword v13, v[14:15], off
	global_load_dword v28, v[26:27], off
	s_waitcnt vmcnt(0)
	v_fmac_f32_e32 v25, v13, v28
	s_branch .LBB3_20
.LBB3_29:                               ;   in Loop: Header=BB3_15 Depth=1
	s_or_b64 exec, exec, s[28:29]
.LBB3_30:                               ;   in Loop: Header=BB3_15 Depth=1
	s_or_b64 exec, exec, s[26:27]
	v_mov_b32_dpp v10, v25 row_shr:1 row_mask:0xf bank_mask:0xf
	v_add_f32_e32 v10, v25, v10
	s_nop 1
	v_mov_b32_dpp v12, v10 row_shr:2 row_mask:0xf bank_mask:0xf
	v_add_f32_e32 v10, v10, v12
	s_nop 1
	;; [unrolled: 3-line block ×4, first 2 shown]
	v_mov_b32_dpp v12, v10 row_bcast:15 row_mask:0xa bank_mask:0xf
	s_and_saveexec_b64 s[26:27], s[0:1]
	s_cbranch_execz .LBB3_13
; %bb.31:                               ;   in Loop: Header=BB3_15 Depth=1
	v_div_scale_f32 v13, s[28:29], v11, v11, 1.0
	v_rcp_f32_e32 v14, v13
	v_div_scale_f32 v15, vcc, 1.0, v11, 1.0
	v_add_f32_e32 v10, v10, v12
	v_fma_f32 v25, -v13, v14, 1.0
	v_fmac_f32_e32 v14, v25, v14
	v_mul_f32_e32 v25, v15, v14
	v_fma_f32 v26, -v13, v25, v15
	v_fmac_f32_e32 v25, v26, v14
	v_fma_f32 v13, -v13, v25, v15
	v_div_fmas_f32 v13, v13, v14, v25
	v_div_fixup_f32 v11, v13, v11, 1.0
	v_sub_f32_e32 v7, v7, v10
	v_mul_f32_e32 v7, v11, v7
	v_fmac_f32_e32 v17, v7, v7
	global_store_dword v[8:9], v7, off
	s_branch .LBB3_13
.LBB3_32:
	s_or_b64 exec, exec, s[10:11]
.LBB3_33:
	s_or_b64 exec, exec, s[6:7]
	v_cmp_eq_u32_e32 vcc, 31, v5
	v_cmp_lt_i32_e64 s[0:1], -1, v4
	s_and_b64 s[0:1], vcc, s[0:1]
	s_and_saveexec_b64 s[6:7], s[0:1]
	s_cbranch_execz .LBB3_44
; %bb.34:
	v_mov_b32_e32 v5, 0
	v_lshlrev_b64 v[4:5], 2, v[4:5]
	v_mov_b32_e32 v3, s21
	v_add_co_u32_e64 v4, s[0:1], s20, v4
	v_addc_co_u32_e64 v5, s[0:1], v3, v5, s[0:1]
	global_load_dword v3, v[4:5], off
	s_load_dwordx2 s[0:1], s[4:5], 0x48
	v_add_u32_e32 v2, s33, v2
	s_waitcnt lgkmcnt(0)
	v_mul_f64 v[6:7], s[0:1], s[0:1]
	s_waitcnt vmcnt(0)
	v_sub_f32_e32 v3, v3, v17
	v_cvt_f64_f32_e32 v[8:9], v3
	v_cmp_ge_f64_e64 s[0:1], v[6:7], v[8:9]
	s_and_saveexec_b64 s[2:3], s[0:1]
	s_cbranch_execz .LBB3_39
; %bb.35:
	s_mov_b64 s[0:1], exec
	s_brev_b32 s4, -2
.LBB3_36:                               ; =>This Inner Loop Header: Depth=1
	s_ff1_i32_b64 s5, s[0:1]
	v_readlane_b32 s16, v2, s5
	s_lshl_b64 s[10:11], 1, s5
	s_min_i32 s4, s4, s16
	s_andn2_b64 s[0:1], s[0:1], s[10:11]
	s_cmp_lg_u64 s[0:1], 0
	s_cbranch_scc1 .LBB3_36
; %bb.37:
	v_mbcnt_lo_u32_b32 v6, exec_lo, 0
	v_mbcnt_hi_u32_b32 v6, exec_hi, v6
	v_cmp_eq_u32_e64 s[0:1], 0, v6
	s_and_saveexec_b64 s[10:11], s[0:1]
	s_xor_b64 s[10:11], exec, s[10:11]
	s_cbranch_execz .LBB3_39
; %bb.38:
	v_mov_b32_e32 v6, 0
	v_mov_b32_e32 v7, s4
	global_atomic_smin v6, v7, s[14:15]
.LBB3_39:
	s_or_b64 exec, exec, s[2:3]
	v_cmp_gt_f32_e64 s[0:1], 0, v3
	v_cndmask_b32_e64 v3, v3, -v3, s[0:1]
	s_mov_b32 s0, 0xf800000
	v_mul_f32_e32 v6, 0x4f800000, v3
	v_cmp_gt_f32_e64 s[0:1], s0, v3
	v_cndmask_b32_e64 v3, v3, v6, s[0:1]
	v_sqrt_f32_e32 v6, v3
	v_add_u32_e32 v7, -1, v6
	v_fma_f32 v8, -v7, v6, v3
	v_cmp_ge_f32_e64 s[2:3], 0, v8
	v_add_u32_e32 v8, 1, v6
	v_cndmask_b32_e64 v7, v6, v7, s[2:3]
	v_fma_f32 v6, -v8, v6, v3
	v_cmp_lt_f32_e64 s[2:3], 0, v6
	v_cndmask_b32_e64 v6, v7, v8, s[2:3]
	v_mul_f32_e32 v7, 0x37800000, v6
	v_cndmask_b32_e64 v6, v6, v7, s[0:1]
	v_mov_b32_e32 v7, 0x260
	v_cmp_class_f32_e64 s[0:1], v3, v7
	v_cndmask_b32_e64 v3, v6, v3, s[0:1]
	v_cmp_eq_f32_e64 s[0:1], 0, v3
	global_store_dword v[4:5], v3, off
	s_and_b64 exec, exec, s[0:1]
	s_cbranch_execz .LBB3_44
; %bb.40:
	s_mov_b64 s[0:1], exec
	s_brev_b32 s2, -2
.LBB3_41:                               ; =>This Inner Loop Header: Depth=1
	s_ff1_i32_b64 s3, s[0:1]
	v_readlane_b32 s10, v2, s3
	s_lshl_b64 s[4:5], 1, s3
	s_min_i32 s2, s2, s10
	s_andn2_b64 s[0:1], s[0:1], s[4:5]
	s_cmp_lg_u64 s[0:1], 0
	s_cbranch_scc1 .LBB3_41
; %bb.42:
	v_mbcnt_lo_u32_b32 v2, exec_lo, 0
	v_mbcnt_hi_u32_b32 v2, exec_hi, v2
	v_cmp_eq_u32_e64 s[0:1], 0, v2
	s_and_saveexec_b64 s[4:5], s[0:1]
	s_xor_b64 s[4:5], exec, s[4:5]
	s_cbranch_execz .LBB3_44
; %bb.43:
	v_mov_b32_e32 v2, 0
	v_mov_b32_e32 v3, s2
	global_atomic_smin v2, v3, s[12:13]
.LBB3_44:
	s_or_b64 exec, exec, s[6:7]
	s_and_b64 exec, exec, vcc
	s_cbranch_execz .LBB3_46
; %bb.45:
	v_mov_b32_e32 v2, s9
	v_add_co_u32_e32 v0, vcc, s8, v0
	v_addc_co_u32_e32 v1, vcc, v2, v1, vcc
	v_mov_b32_e32 v2, 1
	s_waitcnt vmcnt(0)
	global_store_dword v[0:1], v2, off
.LBB3_46:
	s_endpgm
	.section	.rodata,"a",@progbits
	.p2align	6, 0x0
	.amdhsa_kernel _ZN9rocsparseL18csric0_hash_kernelILj256ELj32ELj4EfEEviPKiS2_PT2_S2_PiS2_S5_S5_d21rocsparse_index_base_
		.amdhsa_group_segment_fixed_size 8192
		.amdhsa_private_segment_fixed_size 0
		.amdhsa_kernarg_size 84
		.amdhsa_user_sgpr_count 6
		.amdhsa_user_sgpr_private_segment_buffer 1
		.amdhsa_user_sgpr_dispatch_ptr 0
		.amdhsa_user_sgpr_queue_ptr 0
		.amdhsa_user_sgpr_kernarg_segment_ptr 1
		.amdhsa_user_sgpr_dispatch_id 0
		.amdhsa_user_sgpr_flat_scratch_init 0
		.amdhsa_user_sgpr_kernarg_preload_length 0
		.amdhsa_user_sgpr_kernarg_preload_offset 0
		.amdhsa_user_sgpr_private_segment_size 0
		.amdhsa_uses_dynamic_stack 0
		.amdhsa_system_sgpr_private_segment_wavefront_offset 0
		.amdhsa_system_sgpr_workgroup_id_x 1
		.amdhsa_system_sgpr_workgroup_id_y 0
		.amdhsa_system_sgpr_workgroup_id_z 0
		.amdhsa_system_sgpr_workgroup_info 0
		.amdhsa_system_vgpr_workitem_id 0
		.amdhsa_next_free_vgpr 29
		.amdhsa_next_free_sgpr 46
		.amdhsa_accum_offset 32
		.amdhsa_reserve_vcc 1
		.amdhsa_reserve_flat_scratch 0
		.amdhsa_float_round_mode_32 0
		.amdhsa_float_round_mode_16_64 0
		.amdhsa_float_denorm_mode_32 3
		.amdhsa_float_denorm_mode_16_64 3
		.amdhsa_dx10_clamp 1
		.amdhsa_ieee_mode 1
		.amdhsa_fp16_overflow 0
		.amdhsa_tg_split 0
		.amdhsa_exception_fp_ieee_invalid_op 0
		.amdhsa_exception_fp_denorm_src 0
		.amdhsa_exception_fp_ieee_div_zero 0
		.amdhsa_exception_fp_ieee_overflow 0
		.amdhsa_exception_fp_ieee_underflow 0
		.amdhsa_exception_fp_ieee_inexact 0
		.amdhsa_exception_int_div_zero 0
	.end_amdhsa_kernel
	.section	.text._ZN9rocsparseL18csric0_hash_kernelILj256ELj32ELj4EfEEviPKiS2_PT2_S2_PiS2_S5_S5_d21rocsparse_index_base_,"axG",@progbits,_ZN9rocsparseL18csric0_hash_kernelILj256ELj32ELj4EfEEviPKiS2_PT2_S2_PiS2_S5_S5_d21rocsparse_index_base_,comdat
.Lfunc_end3:
	.size	_ZN9rocsparseL18csric0_hash_kernelILj256ELj32ELj4EfEEviPKiS2_PT2_S2_PiS2_S5_S5_d21rocsparse_index_base_, .Lfunc_end3-_ZN9rocsparseL18csric0_hash_kernelILj256ELj32ELj4EfEEviPKiS2_PT2_S2_PiS2_S5_S5_d21rocsparse_index_base_
                                        ; -- End function
	.section	.AMDGPU.csdata,"",@progbits
; Kernel info:
; codeLenInByte = 1920
; NumSgprs: 50
; NumVgprs: 29
; NumAgprs: 0
; TotalNumVgprs: 29
; ScratchSize: 0
; MemoryBound: 0
; FloatMode: 240
; IeeeMode: 1
; LDSByteSize: 8192 bytes/workgroup (compile time only)
; SGPRBlocks: 6
; VGPRBlocks: 3
; NumSGPRsForWavesPerEU: 50
; NumVGPRsForWavesPerEU: 29
; AccumOffset: 32
; Occupancy: 8
; WaveLimiterHint : 1
; COMPUTE_PGM_RSRC2:SCRATCH_EN: 0
; COMPUTE_PGM_RSRC2:USER_SGPR: 6
; COMPUTE_PGM_RSRC2:TRAP_HANDLER: 0
; COMPUTE_PGM_RSRC2:TGID_X_EN: 1
; COMPUTE_PGM_RSRC2:TGID_Y_EN: 0
; COMPUTE_PGM_RSRC2:TGID_Z_EN: 0
; COMPUTE_PGM_RSRC2:TIDIG_COMP_CNT: 0
; COMPUTE_PGM_RSRC3_GFX90A:ACCUM_OFFSET: 7
; COMPUTE_PGM_RSRC3_GFX90A:TG_SPLIT: 0
	.section	.text._ZN9rocsparseL18csric0_hash_kernelILj256ELj32ELj8EfEEviPKiS2_PT2_S2_PiS2_S5_S5_d21rocsparse_index_base_,"axG",@progbits,_ZN9rocsparseL18csric0_hash_kernelILj256ELj32ELj8EfEEviPKiS2_PT2_S2_PiS2_S5_S5_d21rocsparse_index_base_,comdat
	.globl	_ZN9rocsparseL18csric0_hash_kernelILj256ELj32ELj8EfEEviPKiS2_PT2_S2_PiS2_S5_S5_d21rocsparse_index_base_ ; -- Begin function _ZN9rocsparseL18csric0_hash_kernelILj256ELj32ELj8EfEEviPKiS2_PT2_S2_PiS2_S5_S5_d21rocsparse_index_base_
	.p2align	8
	.type	_ZN9rocsparseL18csric0_hash_kernelILj256ELj32ELj8EfEEviPKiS2_PT2_S2_PiS2_S5_S5_d21rocsparse_index_base_,@function
_ZN9rocsparseL18csric0_hash_kernelILj256ELj32ELj8EfEEviPKiS2_PT2_S2_PiS2_S5_S5_d21rocsparse_index_base_: ; @_ZN9rocsparseL18csric0_hash_kernelILj256ELj32ELj8EfEEviPKiS2_PT2_S2_PiS2_S5_S5_d21rocsparse_index_base_
; %bb.0:
	s_load_dword s0, s[4:5], 0x0
	v_lshlrev_b32_e32 v1, 3, v0
	s_lshl_b32 s1, s6, 3
	v_and_b32_e32 v5, 31, v0
	v_and_b32_e32 v6, 0x700, v1
	v_mov_b32_e32 v1, 0x2000
	v_lshrrev_b32_e32 v0, 5, v0
	s_and_b32 s1, s1, 0x7fffff8
	v_lshl_or_b32 v16, v6, 2, v1
	v_or_b32_e32 v0, s1, v0
	v_lshl_or_b32 v1, v5, 2, v16
	v_mov_b32_e32 v2, -1
	s_waitcnt lgkmcnt(0)
	v_cmp_gt_i32_e32 vcc, s0, v0
	ds_write2_b32 v1, v2, v2 offset1:32
	ds_write2_b32 v1, v2, v2 offset0:64 offset1:96
	ds_write2_b32 v1, v2, v2 offset0:128 offset1:160
	;; [unrolled: 1-line block ×3, first 2 shown]
	s_waitcnt lgkmcnt(0)
	s_and_saveexec_b64 s[0:1], vcc
	s_cbranch_execz .LBB4_46
; %bb.1:
	s_load_dwordx8 s[8:15], s[4:5], 0x28
	v_lshlrev_b32_e32 v0, 2, v0
	s_load_dwordx8 s[16:23], s[4:5], 0x8
	s_load_dword s33, s[4:5], 0x50
	s_waitcnt lgkmcnt(0)
	global_load_dword v2, v0, s[10:11]
	v_mov_b32_e32 v7, s17
	v_mov_b32_e32 v4, s23
	s_waitcnt vmcnt(0)
	v_ashrrev_i32_e32 v3, 31, v2
	v_lshlrev_b64 v[0:1], 2, v[2:3]
	v_add_co_u32_e32 v8, vcc, s16, v0
	v_addc_co_u32_e32 v9, vcc, v7, v1, vcc
	global_load_dwordx2 v[8:9], v[8:9], off
	v_add_co_u32_e32 v10, vcc, s22, v0
	v_addc_co_u32_e32 v11, vcc, v4, v1, vcc
	global_load_dword v4, v[10:11], off
	v_lshlrev_b32_e32 v3, 2, v6
	s_waitcnt vmcnt(1)
	v_subrev_u32_e32 v6, s33, v8
	v_subrev_u32_e32 v7, s33, v9
	v_add_u32_e32 v8, v6, v5
	v_cmp_lt_i32_e32 vcc, v8, v7
	s_and_saveexec_b64 s[0:1], vcc
	s_cbranch_execz .LBB4_11
; %bb.2:
	s_mov_b64 s[2:3], 0
	v_mov_b32_e32 v10, s19
	s_movk_i32 s34, 0x67
	v_mov_b32_e32 v11, -1
	s_branch .LBB4_4
.LBB4_3:                                ;   in Loop: Header=BB4_4 Depth=1
	s_or_b64 exec, exec, s[6:7]
	v_add_u32_e32 v8, 32, v8
	v_cmp_ge_i32_e32 vcc, v8, v7
	s_or_b64 s[2:3], vcc, s[2:3]
	s_andn2_b64 exec, exec, s[2:3]
	s_cbranch_execz .LBB4_11
.LBB4_4:                                ; =>This Loop Header: Depth=1
                                        ;     Child Loop BB4_7 Depth 2
	v_ashrrev_i32_e32 v9, 31, v8
	v_lshlrev_b64 v[12:13], 2, v[8:9]
	v_add_co_u32_e32 v12, vcc, s18, v12
	v_addc_co_u32_e32 v13, vcc, v10, v13, vcc
	global_load_dword v9, v[12:13], off
	s_waitcnt vmcnt(0)
	v_mul_lo_u32 v12, v9, s34
	v_and_b32_e32 v12, 0xff, v12
	v_lshl_add_u32 v13, v12, 2, v16
	ds_read_b32 v14, v13
	s_waitcnt lgkmcnt(0)
	v_cmp_ne_u32_e32 vcc, v14, v9
	s_and_saveexec_b64 s[6:7], vcc
	s_cbranch_execz .LBB4_3
; %bb.5:                                ;   in Loop: Header=BB4_4 Depth=1
	s_mov_b64 s[10:11], 0
                                        ; implicit-def: $sgpr24_sgpr25
                                        ; implicit-def: $sgpr28_sgpr29
                                        ; implicit-def: $sgpr26_sgpr27
	s_branch .LBB4_7
.LBB4_6:                                ;   in Loop: Header=BB4_7 Depth=2
	s_or_b64 exec, exec, s[30:31]
	s_and_b64 s[30:31], exec, s[28:29]
	s_or_b64 s[10:11], s[30:31], s[10:11]
	s_andn2_b64 s[24:25], s[24:25], exec
	s_and_b64 s[30:31], s[26:27], exec
	s_or_b64 s[24:25], s[24:25], s[30:31]
	s_andn2_b64 exec, exec, s[10:11]
	s_cbranch_execz .LBB4_9
.LBB4_7:                                ;   Parent Loop BB4_4 Depth=1
                                        ; =>  This Inner Loop Header: Depth=2
	ds_cmpst_rtn_b32 v13, v13, v11, v9
	v_mov_b32_e32 v14, v12
	s_or_b64 s[26:27], s[26:27], exec
	s_or_b64 s[28:29], s[28:29], exec
                                        ; implicit-def: $vgpr12
	s_waitcnt lgkmcnt(0)
	v_cmp_ne_u32_e32 vcc, -1, v13
                                        ; implicit-def: $vgpr13
	s_and_saveexec_b64 s[30:31], vcc
	s_cbranch_execz .LBB4_6
; %bb.8:                                ;   in Loop: Header=BB4_7 Depth=2
	v_add_u32_e32 v12, 1, v14
	v_and_b32_e32 v12, 0xff, v12
	v_lshl_add_u32 v13, v12, 2, v16
	ds_read_b32 v15, v13
	s_andn2_b64 s[28:29], s[28:29], exec
	s_andn2_b64 s[26:27], s[26:27], exec
	s_waitcnt lgkmcnt(0)
	v_cmp_eq_u32_e32 vcc, v15, v9
	s_and_b64 s[36:37], vcc, exec
	s_or_b64 s[28:29], s[28:29], s[36:37]
	s_branch .LBB4_6
.LBB4_9:                                ;   in Loop: Header=BB4_4 Depth=1
	s_or_b64 exec, exec, s[10:11]
	s_and_saveexec_b64 s[10:11], s[24:25]
	s_xor_b64 s[10:11], exec, s[10:11]
	s_cbranch_execz .LBB4_3
; %bb.10:                               ;   in Loop: Header=BB4_4 Depth=1
	v_lshl_add_u32 v9, v14, 2, v3
	ds_write_b32 v9, v8
	s_branch .LBB4_3
.LBB4_11:
	s_or_b64 exec, exec, s[0:1]
	s_waitcnt vmcnt(0)
	v_cmp_lt_i32_e32 vcc, v6, v4
	v_mov_b32_e32 v17, 0
	s_waitcnt lgkmcnt(0)
	s_and_saveexec_b64 s[6:7], vcc
	s_cbranch_execz .LBB4_33
; %bb.12:
	v_add_u32_e32 v18, -1, v4
	v_subrev_u32_e32 v19, s33, v5
	v_cmp_eq_u32_e64 s[0:1], 31, v5
	s_mov_b64 s[10:11], 0
	v_mov_b32_e32 v17, 0
	v_mov_b32_e32 v20, s19
	;; [unrolled: 1-line block ×6, first 2 shown]
	s_movk_i32 s17, 0x67
	s_branch .LBB4_15
.LBB4_13:                               ;   in Loop: Header=BB4_15 Depth=1
	s_or_b64 exec, exec, s[26:27]
.LBB4_14:                               ;   in Loop: Header=BB4_15 Depth=1
	s_or_b64 exec, exec, s[24:25]
	v_add_u32_e32 v6, 1, v6
	v_cmp_ge_i32_e32 vcc, v6, v4
	s_xor_b64 s[2:3], s[2:3], -1
	s_or_b64 s[2:3], s[2:3], vcc
	s_and_b64 s[2:3], exec, s[2:3]
	s_or_b64 s[10:11], s[2:3], s[10:11]
	s_andn2_b64 exec, exec, s[10:11]
	s_cbranch_execz .LBB4_32
.LBB4_15:                               ; =>This Loop Header: Depth=1
                                        ;     Child Loop BB4_16 Depth 2
                                        ;     Child Loop BB4_22 Depth 2
                                        ;       Child Loop BB4_25 Depth 3
	v_ashrrev_i32_e32 v7, 31, v6
	v_lshlrev_b64 v[8:9], 2, v[6:7]
	v_add_co_u32_e32 v10, vcc, s18, v8
	v_addc_co_u32_e32 v11, vcc, v20, v9, vcc
	global_load_dword v10, v[10:11], off
	v_add_co_u32_e32 v8, vcc, s20, v8
	v_addc_co_u32_e32 v9, vcc, v21, v9, vcc
	global_load_dword v7, v[8:9], off
	s_mov_b64 s[2:3], 0
	s_waitcnt vmcnt(1)
	v_subrev_u32_e32 v10, s33, v10
	v_ashrrev_i32_e32 v11, 31, v10
	v_lshlrev_b64 v[10:11], 2, v[10:11]
	v_add_co_u32_e32 v14, vcc, s16, v10
	v_addc_co_u32_e32 v15, vcc, v22, v11, vcc
	v_add_co_u32_e32 v26, vcc, s22, v10
	v_addc_co_u32_e32 v27, vcc, v23, v11, vcc
	global_load_dword v12, v[14:15], off
	global_load_dword v13, v[26:27], off
	v_add_co_u32_e32 v10, vcc, s8, v10
	v_addc_co_u32_e32 v11, vcc, v24, v11, vcc
.LBB4_16:                               ;   Parent Loop BB4_15 Depth=1
                                        ; =>  This Inner Loop Header: Depth=2
	global_load_dword v14, v[10:11], off glc
	s_waitcnt vmcnt(0)
	v_cmp_ne_u32_e32 vcc, 0, v14
	s_or_b64 s[2:3], vcc, s[2:3]
	s_andn2_b64 exec, exec, s[2:3]
	s_cbranch_execnz .LBB4_16
; %bb.17:                               ;   in Loop: Header=BB4_15 Depth=1
	s_or_b64 exec, exec, s[2:3]
	v_cmp_eq_u32_e32 vcc, -1, v13
	v_cndmask_b32_e32 v10, v13, v18, vcc
	v_ashrrev_i32_e32 v11, 31, v10
	v_lshlrev_b64 v[14:15], 2, v[10:11]
	v_add_co_u32_e32 v14, vcc, s20, v14
	v_addc_co_u32_e32 v15, vcc, v21, v15, vcc
	buffer_wbinvl1_vol
	global_load_dword v11, v[14:15], off
	s_waitcnt vmcnt(0)
	v_cmp_neq_f32_e64 s[2:3], 0, v11
	s_and_saveexec_b64 s[24:25], s[2:3]
	s_cbranch_execz .LBB4_14
; %bb.18:                               ;   in Loop: Header=BB4_15 Depth=1
	v_add_u32_e32 v12, v19, v12
	v_cmp_lt_i32_e32 vcc, v12, v10
	v_mov_b32_e32 v25, 0
	s_and_saveexec_b64 s[26:27], vcc
	s_cbranch_execz .LBB4_30
; %bb.19:                               ;   in Loop: Header=BB4_15 Depth=1
	s_mov_b64 s[28:29], 0
	v_mov_b32_e32 v25, 0
	s_branch .LBB4_22
.LBB4_20:                               ;   in Loop: Header=BB4_22 Depth=2
	s_or_b64 exec, exec, s[34:35]
.LBB4_21:                               ;   in Loop: Header=BB4_22 Depth=2
	s_or_b64 exec, exec, s[30:31]
	v_add_u32_e32 v12, 32, v12
	v_cmp_ge_i32_e32 vcc, v12, v10
	s_or_b64 s[28:29], vcc, s[28:29]
	s_andn2_b64 exec, exec, s[28:29]
	s_cbranch_execz .LBB4_29
.LBB4_22:                               ;   Parent Loop BB4_15 Depth=1
                                        ; =>  This Loop Header: Depth=2
                                        ;       Child Loop BB4_25 Depth 3
	v_ashrrev_i32_e32 v13, 31, v12
	v_lshlrev_b64 v[14:15], 2, v[12:13]
	v_add_co_u32_e32 v26, vcc, s18, v14
	v_addc_co_u32_e32 v27, vcc, v20, v15, vcc
	global_load_dword v13, v[26:27], off
	s_waitcnt vmcnt(0)
	v_mul_lo_u32 v26, v13, s17
	v_and_b32_e32 v28, 0xff, v26
	v_lshl_add_u32 v26, v28, 2, v16
	ds_read_b32 v27, v26
	s_waitcnt lgkmcnt(0)
	v_cmp_ne_u32_e32 vcc, -1, v27
	s_and_saveexec_b64 s[30:31], vcc
	s_cbranch_execz .LBB4_21
; %bb.23:                               ;   in Loop: Header=BB4_22 Depth=2
	s_mov_b64 s[34:35], 0
                                        ; implicit-def: $sgpr36_sgpr37
                                        ; implicit-def: $sgpr40_sgpr41
                                        ; implicit-def: $sgpr38_sgpr39
	s_branch .LBB4_25
.LBB4_24:                               ;   in Loop: Header=BB4_25 Depth=3
	s_or_b64 exec, exec, s[42:43]
	s_and_b64 s[42:43], exec, s[40:41]
	s_or_b64 s[34:35], s[42:43], s[34:35]
	s_andn2_b64 s[36:37], s[36:37], exec
	s_and_b64 s[42:43], s[38:39], exec
	s_or_b64 s[36:37], s[36:37], s[42:43]
	s_andn2_b64 exec, exec, s[34:35]
	s_cbranch_execz .LBB4_27
.LBB4_25:                               ;   Parent Loop BB4_15 Depth=1
                                        ;     Parent Loop BB4_22 Depth=2
                                        ; =>    This Inner Loop Header: Depth=3
	v_mov_b32_e32 v26, v28
	v_cmp_ne_u32_e32 vcc, v27, v13
	s_or_b64 s[38:39], s[38:39], exec
	s_or_b64 s[40:41], s[40:41], exec
                                        ; implicit-def: $vgpr28
                                        ; implicit-def: $vgpr27
	s_and_saveexec_b64 s[42:43], vcc
	s_cbranch_execz .LBB4_24
; %bb.26:                               ;   in Loop: Header=BB4_25 Depth=3
	v_add_u32_e32 v27, 1, v26
	v_and_b32_e32 v28, 0xff, v27
	v_lshl_add_u32 v27, v28, 2, v16
	ds_read_b32 v27, v27
	s_andn2_b64 s[40:41], s[40:41], exec
	s_andn2_b64 s[38:39], s[38:39], exec
	s_waitcnt lgkmcnt(0)
	v_cmp_eq_u32_e32 vcc, -1, v27
	s_and_b64 s[44:45], vcc, exec
	s_or_b64 s[40:41], s[40:41], s[44:45]
	s_branch .LBB4_24
.LBB4_27:                               ;   in Loop: Header=BB4_22 Depth=2
	s_or_b64 exec, exec, s[34:35]
	s_and_saveexec_b64 s[34:35], s[36:37]
	s_xor_b64 s[34:35], exec, s[34:35]
	s_cbranch_execz .LBB4_20
; %bb.28:                               ;   in Loop: Header=BB4_22 Depth=2
	v_lshl_add_u32 v13, v26, 2, v3
	ds_read_b32 v26, v13
	v_add_co_u32_e32 v14, vcc, s20, v14
	v_addc_co_u32_e32 v15, vcc, v21, v15, vcc
	s_waitcnt lgkmcnt(0)
	v_ashrrev_i32_e32 v27, 31, v26
	v_lshlrev_b64 v[26:27], 2, v[26:27]
	v_add_co_u32_e32 v26, vcc, s20, v26
	v_addc_co_u32_e32 v27, vcc, v21, v27, vcc
	global_load_dword v13, v[14:15], off
	global_load_dword v28, v[26:27], off
	s_waitcnt vmcnt(0)
	v_fmac_f32_e32 v25, v13, v28
	s_branch .LBB4_20
.LBB4_29:                               ;   in Loop: Header=BB4_15 Depth=1
	s_or_b64 exec, exec, s[28:29]
.LBB4_30:                               ;   in Loop: Header=BB4_15 Depth=1
	s_or_b64 exec, exec, s[26:27]
	v_mov_b32_dpp v10, v25 row_shr:1 row_mask:0xf bank_mask:0xf
	v_add_f32_e32 v10, v25, v10
	s_nop 1
	v_mov_b32_dpp v12, v10 row_shr:2 row_mask:0xf bank_mask:0xf
	v_add_f32_e32 v10, v10, v12
	s_nop 1
	;; [unrolled: 3-line block ×4, first 2 shown]
	v_mov_b32_dpp v12, v10 row_bcast:15 row_mask:0xa bank_mask:0xf
	s_and_saveexec_b64 s[26:27], s[0:1]
	s_cbranch_execz .LBB4_13
; %bb.31:                               ;   in Loop: Header=BB4_15 Depth=1
	v_div_scale_f32 v13, s[28:29], v11, v11, 1.0
	v_rcp_f32_e32 v14, v13
	v_div_scale_f32 v15, vcc, 1.0, v11, 1.0
	v_add_f32_e32 v10, v10, v12
	v_fma_f32 v25, -v13, v14, 1.0
	v_fmac_f32_e32 v14, v25, v14
	v_mul_f32_e32 v25, v15, v14
	v_fma_f32 v26, -v13, v25, v15
	v_fmac_f32_e32 v25, v26, v14
	v_fma_f32 v13, -v13, v25, v15
	v_div_fmas_f32 v13, v13, v14, v25
	v_div_fixup_f32 v11, v13, v11, 1.0
	v_sub_f32_e32 v7, v7, v10
	v_mul_f32_e32 v7, v11, v7
	v_fmac_f32_e32 v17, v7, v7
	global_store_dword v[8:9], v7, off
	s_branch .LBB4_13
.LBB4_32:
	s_or_b64 exec, exec, s[10:11]
.LBB4_33:
	s_or_b64 exec, exec, s[6:7]
	v_cmp_eq_u32_e32 vcc, 31, v5
	v_cmp_lt_i32_e64 s[0:1], -1, v4
	s_and_b64 s[0:1], vcc, s[0:1]
	s_and_saveexec_b64 s[6:7], s[0:1]
	s_cbranch_execz .LBB4_44
; %bb.34:
	v_mov_b32_e32 v5, 0
	v_lshlrev_b64 v[4:5], 2, v[4:5]
	v_mov_b32_e32 v3, s21
	v_add_co_u32_e64 v4, s[0:1], s20, v4
	v_addc_co_u32_e64 v5, s[0:1], v3, v5, s[0:1]
	global_load_dword v3, v[4:5], off
	s_load_dwordx2 s[0:1], s[4:5], 0x48
	v_add_u32_e32 v2, s33, v2
	s_waitcnt lgkmcnt(0)
	v_mul_f64 v[6:7], s[0:1], s[0:1]
	s_waitcnt vmcnt(0)
	v_sub_f32_e32 v3, v3, v17
	v_cvt_f64_f32_e32 v[8:9], v3
	v_cmp_ge_f64_e64 s[0:1], v[6:7], v[8:9]
	s_and_saveexec_b64 s[2:3], s[0:1]
	s_cbranch_execz .LBB4_39
; %bb.35:
	s_mov_b64 s[0:1], exec
	s_brev_b32 s4, -2
.LBB4_36:                               ; =>This Inner Loop Header: Depth=1
	s_ff1_i32_b64 s5, s[0:1]
	v_readlane_b32 s16, v2, s5
	s_lshl_b64 s[10:11], 1, s5
	s_min_i32 s4, s4, s16
	s_andn2_b64 s[0:1], s[0:1], s[10:11]
	s_cmp_lg_u64 s[0:1], 0
	s_cbranch_scc1 .LBB4_36
; %bb.37:
	v_mbcnt_lo_u32_b32 v6, exec_lo, 0
	v_mbcnt_hi_u32_b32 v6, exec_hi, v6
	v_cmp_eq_u32_e64 s[0:1], 0, v6
	s_and_saveexec_b64 s[10:11], s[0:1]
	s_xor_b64 s[10:11], exec, s[10:11]
	s_cbranch_execz .LBB4_39
; %bb.38:
	v_mov_b32_e32 v6, 0
	v_mov_b32_e32 v7, s4
	global_atomic_smin v6, v7, s[14:15]
.LBB4_39:
	s_or_b64 exec, exec, s[2:3]
	v_cmp_gt_f32_e64 s[0:1], 0, v3
	v_cndmask_b32_e64 v3, v3, -v3, s[0:1]
	s_mov_b32 s0, 0xf800000
	v_mul_f32_e32 v6, 0x4f800000, v3
	v_cmp_gt_f32_e64 s[0:1], s0, v3
	v_cndmask_b32_e64 v3, v3, v6, s[0:1]
	v_sqrt_f32_e32 v6, v3
	v_add_u32_e32 v7, -1, v6
	v_fma_f32 v8, -v7, v6, v3
	v_cmp_ge_f32_e64 s[2:3], 0, v8
	v_add_u32_e32 v8, 1, v6
	v_cndmask_b32_e64 v7, v6, v7, s[2:3]
	v_fma_f32 v6, -v8, v6, v3
	v_cmp_lt_f32_e64 s[2:3], 0, v6
	v_cndmask_b32_e64 v6, v7, v8, s[2:3]
	v_mul_f32_e32 v7, 0x37800000, v6
	v_cndmask_b32_e64 v6, v6, v7, s[0:1]
	v_mov_b32_e32 v7, 0x260
	v_cmp_class_f32_e64 s[0:1], v3, v7
	v_cndmask_b32_e64 v3, v6, v3, s[0:1]
	v_cmp_eq_f32_e64 s[0:1], 0, v3
	global_store_dword v[4:5], v3, off
	s_and_b64 exec, exec, s[0:1]
	s_cbranch_execz .LBB4_44
; %bb.40:
	s_mov_b64 s[0:1], exec
	s_brev_b32 s2, -2
.LBB4_41:                               ; =>This Inner Loop Header: Depth=1
	s_ff1_i32_b64 s3, s[0:1]
	v_readlane_b32 s10, v2, s3
	s_lshl_b64 s[4:5], 1, s3
	s_min_i32 s2, s2, s10
	s_andn2_b64 s[0:1], s[0:1], s[4:5]
	s_cmp_lg_u64 s[0:1], 0
	s_cbranch_scc1 .LBB4_41
; %bb.42:
	v_mbcnt_lo_u32_b32 v2, exec_lo, 0
	v_mbcnt_hi_u32_b32 v2, exec_hi, v2
	v_cmp_eq_u32_e64 s[0:1], 0, v2
	s_and_saveexec_b64 s[4:5], s[0:1]
	s_xor_b64 s[4:5], exec, s[4:5]
	s_cbranch_execz .LBB4_44
; %bb.43:
	v_mov_b32_e32 v2, 0
	v_mov_b32_e32 v3, s2
	global_atomic_smin v2, v3, s[12:13]
.LBB4_44:
	s_or_b64 exec, exec, s[6:7]
	s_and_b64 exec, exec, vcc
	s_cbranch_execz .LBB4_46
; %bb.45:
	v_mov_b32_e32 v2, s9
	v_add_co_u32_e32 v0, vcc, s8, v0
	v_addc_co_u32_e32 v1, vcc, v2, v1, vcc
	v_mov_b32_e32 v2, 1
	s_waitcnt vmcnt(0)
	global_store_dword v[0:1], v2, off
.LBB4_46:
	s_endpgm
	.section	.rodata,"a",@progbits
	.p2align	6, 0x0
	.amdhsa_kernel _ZN9rocsparseL18csric0_hash_kernelILj256ELj32ELj8EfEEviPKiS2_PT2_S2_PiS2_S5_S5_d21rocsparse_index_base_
		.amdhsa_group_segment_fixed_size 16384
		.amdhsa_private_segment_fixed_size 0
		.amdhsa_kernarg_size 84
		.amdhsa_user_sgpr_count 6
		.amdhsa_user_sgpr_private_segment_buffer 1
		.amdhsa_user_sgpr_dispatch_ptr 0
		.amdhsa_user_sgpr_queue_ptr 0
		.amdhsa_user_sgpr_kernarg_segment_ptr 1
		.amdhsa_user_sgpr_dispatch_id 0
		.amdhsa_user_sgpr_flat_scratch_init 0
		.amdhsa_user_sgpr_kernarg_preload_length 0
		.amdhsa_user_sgpr_kernarg_preload_offset 0
		.amdhsa_user_sgpr_private_segment_size 0
		.amdhsa_uses_dynamic_stack 0
		.amdhsa_system_sgpr_private_segment_wavefront_offset 0
		.amdhsa_system_sgpr_workgroup_id_x 1
		.amdhsa_system_sgpr_workgroup_id_y 0
		.amdhsa_system_sgpr_workgroup_id_z 0
		.amdhsa_system_sgpr_workgroup_info 0
		.amdhsa_system_vgpr_workitem_id 0
		.amdhsa_next_free_vgpr 29
		.amdhsa_next_free_sgpr 46
		.amdhsa_accum_offset 32
		.amdhsa_reserve_vcc 1
		.amdhsa_reserve_flat_scratch 0
		.amdhsa_float_round_mode_32 0
		.amdhsa_float_round_mode_16_64 0
		.amdhsa_float_denorm_mode_32 3
		.amdhsa_float_denorm_mode_16_64 3
		.amdhsa_dx10_clamp 1
		.amdhsa_ieee_mode 1
		.amdhsa_fp16_overflow 0
		.amdhsa_tg_split 0
		.amdhsa_exception_fp_ieee_invalid_op 0
		.amdhsa_exception_fp_denorm_src 0
		.amdhsa_exception_fp_ieee_div_zero 0
		.amdhsa_exception_fp_ieee_overflow 0
		.amdhsa_exception_fp_ieee_underflow 0
		.amdhsa_exception_fp_ieee_inexact 0
		.amdhsa_exception_int_div_zero 0
	.end_amdhsa_kernel
	.section	.text._ZN9rocsparseL18csric0_hash_kernelILj256ELj32ELj8EfEEviPKiS2_PT2_S2_PiS2_S5_S5_d21rocsparse_index_base_,"axG",@progbits,_ZN9rocsparseL18csric0_hash_kernelILj256ELj32ELj8EfEEviPKiS2_PT2_S2_PiS2_S5_S5_d21rocsparse_index_base_,comdat
.Lfunc_end4:
	.size	_ZN9rocsparseL18csric0_hash_kernelILj256ELj32ELj8EfEEviPKiS2_PT2_S2_PiS2_S5_S5_d21rocsparse_index_base_, .Lfunc_end4-_ZN9rocsparseL18csric0_hash_kernelILj256ELj32ELj8EfEEviPKiS2_PT2_S2_PiS2_S5_S5_d21rocsparse_index_base_
                                        ; -- End function
	.section	.AMDGPU.csdata,"",@progbits
; Kernel info:
; codeLenInByte = 1936
; NumSgprs: 50
; NumVgprs: 29
; NumAgprs: 0
; TotalNumVgprs: 29
; ScratchSize: 0
; MemoryBound: 0
; FloatMode: 240
; IeeeMode: 1
; LDSByteSize: 16384 bytes/workgroup (compile time only)
; SGPRBlocks: 6
; VGPRBlocks: 3
; NumSGPRsForWavesPerEU: 50
; NumVGPRsForWavesPerEU: 29
; AccumOffset: 32
; Occupancy: 4
; WaveLimiterHint : 1
; COMPUTE_PGM_RSRC2:SCRATCH_EN: 0
; COMPUTE_PGM_RSRC2:USER_SGPR: 6
; COMPUTE_PGM_RSRC2:TRAP_HANDLER: 0
; COMPUTE_PGM_RSRC2:TGID_X_EN: 1
; COMPUTE_PGM_RSRC2:TGID_Y_EN: 0
; COMPUTE_PGM_RSRC2:TGID_Z_EN: 0
; COMPUTE_PGM_RSRC2:TIDIG_COMP_CNT: 0
; COMPUTE_PGM_RSRC3_GFX90A:ACCUM_OFFSET: 7
; COMPUTE_PGM_RSRC3_GFX90A:TG_SPLIT: 0
	.section	.text._ZN9rocsparseL18csric0_hash_kernelILj256ELj32ELj16EfEEviPKiS2_PT2_S2_PiS2_S5_S5_d21rocsparse_index_base_,"axG",@progbits,_ZN9rocsparseL18csric0_hash_kernelILj256ELj32ELj16EfEEviPKiS2_PT2_S2_PiS2_S5_S5_d21rocsparse_index_base_,comdat
	.globl	_ZN9rocsparseL18csric0_hash_kernelILj256ELj32ELj16EfEEviPKiS2_PT2_S2_PiS2_S5_S5_d21rocsparse_index_base_ ; -- Begin function _ZN9rocsparseL18csric0_hash_kernelILj256ELj32ELj16EfEEviPKiS2_PT2_S2_PiS2_S5_S5_d21rocsparse_index_base_
	.p2align	8
	.type	_ZN9rocsparseL18csric0_hash_kernelILj256ELj32ELj16EfEEviPKiS2_PT2_S2_PiS2_S5_S5_d21rocsparse_index_base_,@function
_ZN9rocsparseL18csric0_hash_kernelILj256ELj32ELj16EfEEviPKiS2_PT2_S2_PiS2_S5_S5_d21rocsparse_index_base_: ; @_ZN9rocsparseL18csric0_hash_kernelILj256ELj32ELj16EfEEviPKiS2_PT2_S2_PiS2_S5_S5_d21rocsparse_index_base_
; %bb.0:
	s_load_dwordx8 s[16:23], s[4:5], 0x8
	s_load_dwordx8 s[8:15], s[4:5], 0x28
	v_and_b32_e32 v7, 31, v0
	v_lshrrev_b32_e32 v1, 5, v0
	v_lshlrev_b32_e32 v3, 11, v1
	v_lshlrev_b32_e32 v4, 2, v7
	s_movk_i32 s0, 0x4000
	v_or_b32_e32 v2, 0xffffffe0, v7
	v_or3_b32 v3, v3, v4, s0
	s_mov_b64 s[0:1], 0
	v_mov_b32_e32 v4, -1
	s_movk_i32 s2, 0x1df
.LBB5_1:                                ; =>This Inner Loop Header: Depth=1
	v_add_u32_e32 v2, 32, v2
	v_cmp_lt_u32_e32 vcc, s2, v2
	ds_write_b32 v3, v4
	s_or_b64 s[0:1], vcc, s[0:1]
	v_add_u32_e32 v3, 0x80, v3
	s_andn2_b64 exec, exec, s[0:1]
	s_cbranch_execnz .LBB5_1
; %bb.2:
	s_or_b64 exec, exec, s[0:1]
	s_load_dword s0, s[4:5], 0x0
	s_lshl_b32 s1, s6, 3
	s_and_b32 s1, s1, 0x7fffff8
	v_or_b32_e32 v1, s1, v1
	s_waitcnt lgkmcnt(0)
	v_cmp_gt_i32_e32 vcc, s0, v1
	s_and_saveexec_b64 s[0:1], vcc
	s_cbranch_execz .LBB5_48
; %bb.3:
	v_lshlrev_b32_e32 v1, 2, v1
	global_load_dword v4, v1, s[10:11]
	v_mov_b32_e32 v6, s17
	v_mov_b32_e32 v1, s23
	s_load_dword s33, s[4:5], 0x50
	v_lshlrev_b32_e32 v0, 6, v0
	s_waitcnt vmcnt(0)
	v_ashrrev_i32_e32 v5, 31, v4
	v_lshlrev_b64 v[2:3], 2, v[4:5]
	v_add_co_u32_e32 v8, vcc, s16, v2
	v_addc_co_u32_e32 v9, vcc, v6, v3, vcc
	global_load_dwordx2 v[8:9], v[8:9], off
	v_add_co_u32_e32 v10, vcc, s22, v2
	v_addc_co_u32_e32 v11, vcc, v1, v3, vcc
	global_load_dword v6, v[10:11], off
	v_and_b32_e32 v5, 0x3800, v0
	v_or_b32_e32 v16, 0x4000, v5
	s_waitcnt vmcnt(1) lgkmcnt(0)
	v_subrev_u32_e32 v0, s33, v8
	v_subrev_u32_e32 v1, s33, v9
	v_add_u32_e32 v8, v0, v7
	v_cmp_lt_i32_e32 vcc, v8, v1
	s_and_saveexec_b64 s[0:1], vcc
	s_cbranch_execz .LBB5_13
; %bb.4:
	s_mov_b64 s[2:3], 0
	v_mov_b32_e32 v10, s19
	s_movk_i32 s34, 0x67
	v_mov_b32_e32 v11, -1
	s_branch .LBB5_6
.LBB5_5:                                ;   in Loop: Header=BB5_6 Depth=1
	s_or_b64 exec, exec, s[6:7]
	v_add_u32_e32 v8, 32, v8
	v_cmp_ge_i32_e32 vcc, v8, v1
	s_or_b64 s[2:3], vcc, s[2:3]
	s_andn2_b64 exec, exec, s[2:3]
	s_cbranch_execz .LBB5_13
.LBB5_6:                                ; =>This Loop Header: Depth=1
                                        ;     Child Loop BB5_9 Depth 2
	v_ashrrev_i32_e32 v9, 31, v8
	v_lshlrev_b64 v[12:13], 2, v[8:9]
	v_add_co_u32_e32 v12, vcc, s18, v12
	v_addc_co_u32_e32 v13, vcc, v10, v13, vcc
	global_load_dword v9, v[12:13], off
	s_waitcnt vmcnt(0)
	v_mul_lo_u32 v12, v9, s34
	v_and_b32_e32 v12, 0x1ff, v12
	v_lshl_add_u32 v13, v12, 2, v16
	ds_read_b32 v14, v13
	s_waitcnt lgkmcnt(0)
	v_cmp_ne_u32_e32 vcc, v14, v9
	s_and_saveexec_b64 s[6:7], vcc
	s_cbranch_execz .LBB5_5
; %bb.7:                                ;   in Loop: Header=BB5_6 Depth=1
	s_mov_b64 s[10:11], 0
                                        ; implicit-def: $sgpr24_sgpr25
                                        ; implicit-def: $sgpr28_sgpr29
                                        ; implicit-def: $sgpr26_sgpr27
	s_branch .LBB5_9
.LBB5_8:                                ;   in Loop: Header=BB5_9 Depth=2
	s_or_b64 exec, exec, s[30:31]
	s_and_b64 s[30:31], exec, s[28:29]
	s_or_b64 s[10:11], s[30:31], s[10:11]
	s_andn2_b64 s[24:25], s[24:25], exec
	s_and_b64 s[30:31], s[26:27], exec
	s_or_b64 s[24:25], s[24:25], s[30:31]
	s_andn2_b64 exec, exec, s[10:11]
	s_cbranch_execz .LBB5_11
.LBB5_9:                                ;   Parent Loop BB5_6 Depth=1
                                        ; =>  This Inner Loop Header: Depth=2
	ds_cmpst_rtn_b32 v13, v13, v11, v9
	v_mov_b32_e32 v14, v12
	s_or_b64 s[26:27], s[26:27], exec
	s_or_b64 s[28:29], s[28:29], exec
                                        ; implicit-def: $vgpr12
	s_waitcnt lgkmcnt(0)
	v_cmp_ne_u32_e32 vcc, -1, v13
                                        ; implicit-def: $vgpr13
	s_and_saveexec_b64 s[30:31], vcc
	s_cbranch_execz .LBB5_8
; %bb.10:                               ;   in Loop: Header=BB5_9 Depth=2
	v_add_u32_e32 v12, 1, v14
	v_and_b32_e32 v12, 0x1ff, v12
	v_lshl_add_u32 v13, v12, 2, v16
	ds_read_b32 v15, v13
	s_andn2_b64 s[28:29], s[28:29], exec
	s_andn2_b64 s[26:27], s[26:27], exec
	s_waitcnt lgkmcnt(0)
	v_cmp_eq_u32_e32 vcc, v15, v9
	s_and_b64 s[36:37], vcc, exec
	s_or_b64 s[28:29], s[28:29], s[36:37]
	s_branch .LBB5_8
.LBB5_11:                               ;   in Loop: Header=BB5_6 Depth=1
	s_or_b64 exec, exec, s[10:11]
	s_and_saveexec_b64 s[10:11], s[24:25]
	s_xor_b64 s[10:11], exec, s[10:11]
	s_cbranch_execz .LBB5_5
; %bb.12:                               ;   in Loop: Header=BB5_6 Depth=1
	v_lshl_add_u32 v9, v14, 2, v5
	ds_write_b32 v9, v8
	s_branch .LBB5_5
.LBB5_13:
	s_or_b64 exec, exec, s[0:1]
	s_waitcnt vmcnt(0)
	v_cmp_lt_i32_e32 vcc, v0, v6
	v_mov_b32_e32 v17, 0
	s_waitcnt lgkmcnt(0)
	s_and_saveexec_b64 s[6:7], vcc
	s_cbranch_execz .LBB5_35
; %bb.14:
	v_add_u32_e32 v18, -1, v6
	v_subrev_u32_e32 v19, s33, v7
	v_cmp_eq_u32_e64 s[0:1], 31, v7
	s_mov_b64 s[10:11], 0
	v_mov_b32_e32 v17, 0
	v_mov_b32_e32 v20, s19
	;; [unrolled: 1-line block ×6, first 2 shown]
	s_movk_i32 s17, 0x67
	s_branch .LBB5_17
.LBB5_15:                               ;   in Loop: Header=BB5_17 Depth=1
	s_or_b64 exec, exec, s[26:27]
.LBB5_16:                               ;   in Loop: Header=BB5_17 Depth=1
	s_or_b64 exec, exec, s[24:25]
	v_add_u32_e32 v0, 1, v0
	v_cmp_ge_i32_e32 vcc, v0, v6
	s_xor_b64 s[2:3], s[2:3], -1
	s_or_b64 s[2:3], s[2:3], vcc
	s_and_b64 s[2:3], exec, s[2:3]
	s_or_b64 s[10:11], s[2:3], s[10:11]
	s_andn2_b64 exec, exec, s[10:11]
	s_cbranch_execz .LBB5_34
.LBB5_17:                               ; =>This Loop Header: Depth=1
                                        ;     Child Loop BB5_18 Depth 2
                                        ;     Child Loop BB5_24 Depth 2
                                        ;       Child Loop BB5_27 Depth 3
	v_ashrrev_i32_e32 v1, 31, v0
	v_lshlrev_b64 v[8:9], 2, v[0:1]
	v_add_co_u32_e32 v10, vcc, s18, v8
	v_addc_co_u32_e32 v11, vcc, v20, v9, vcc
	global_load_dword v10, v[10:11], off
	v_add_co_u32_e32 v8, vcc, s20, v8
	v_addc_co_u32_e32 v9, vcc, v21, v9, vcc
	global_load_dword v1, v[8:9], off
	s_mov_b64 s[2:3], 0
	s_waitcnt vmcnt(1)
	v_subrev_u32_e32 v10, s33, v10
	v_ashrrev_i32_e32 v11, 31, v10
	v_lshlrev_b64 v[10:11], 2, v[10:11]
	v_add_co_u32_e32 v14, vcc, s16, v10
	v_addc_co_u32_e32 v15, vcc, v22, v11, vcc
	v_add_co_u32_e32 v26, vcc, s22, v10
	v_addc_co_u32_e32 v27, vcc, v23, v11, vcc
	global_load_dword v12, v[14:15], off
	global_load_dword v13, v[26:27], off
	v_add_co_u32_e32 v10, vcc, s8, v10
	v_addc_co_u32_e32 v11, vcc, v24, v11, vcc
.LBB5_18:                               ;   Parent Loop BB5_17 Depth=1
                                        ; =>  This Inner Loop Header: Depth=2
	global_load_dword v14, v[10:11], off glc
	s_waitcnt vmcnt(0)
	v_cmp_ne_u32_e32 vcc, 0, v14
	s_or_b64 s[2:3], vcc, s[2:3]
	s_andn2_b64 exec, exec, s[2:3]
	s_cbranch_execnz .LBB5_18
; %bb.19:                               ;   in Loop: Header=BB5_17 Depth=1
	s_or_b64 exec, exec, s[2:3]
	v_cmp_eq_u32_e32 vcc, -1, v13
	v_cndmask_b32_e32 v10, v13, v18, vcc
	v_ashrrev_i32_e32 v11, 31, v10
	v_lshlrev_b64 v[14:15], 2, v[10:11]
	v_add_co_u32_e32 v14, vcc, s20, v14
	v_addc_co_u32_e32 v15, vcc, v21, v15, vcc
	buffer_wbinvl1_vol
	global_load_dword v11, v[14:15], off
	s_waitcnt vmcnt(0)
	v_cmp_neq_f32_e64 s[2:3], 0, v11
	s_and_saveexec_b64 s[24:25], s[2:3]
	s_cbranch_execz .LBB5_16
; %bb.20:                               ;   in Loop: Header=BB5_17 Depth=1
	v_add_u32_e32 v12, v19, v12
	v_cmp_lt_i32_e32 vcc, v12, v10
	v_mov_b32_e32 v25, 0
	s_and_saveexec_b64 s[26:27], vcc
	s_cbranch_execz .LBB5_32
; %bb.21:                               ;   in Loop: Header=BB5_17 Depth=1
	s_mov_b64 s[28:29], 0
	v_mov_b32_e32 v25, 0
	s_branch .LBB5_24
.LBB5_22:                               ;   in Loop: Header=BB5_24 Depth=2
	s_or_b64 exec, exec, s[34:35]
.LBB5_23:                               ;   in Loop: Header=BB5_24 Depth=2
	s_or_b64 exec, exec, s[30:31]
	v_add_u32_e32 v12, 32, v12
	v_cmp_ge_i32_e32 vcc, v12, v10
	s_or_b64 s[28:29], vcc, s[28:29]
	s_andn2_b64 exec, exec, s[28:29]
	s_cbranch_execz .LBB5_31
.LBB5_24:                               ;   Parent Loop BB5_17 Depth=1
                                        ; =>  This Loop Header: Depth=2
                                        ;       Child Loop BB5_27 Depth 3
	v_ashrrev_i32_e32 v13, 31, v12
	v_lshlrev_b64 v[14:15], 2, v[12:13]
	v_add_co_u32_e32 v26, vcc, s18, v14
	v_addc_co_u32_e32 v27, vcc, v20, v15, vcc
	global_load_dword v13, v[26:27], off
	s_waitcnt vmcnt(0)
	v_mul_lo_u32 v26, v13, s17
	v_and_b32_e32 v28, 0x1ff, v26
	v_lshl_add_u32 v26, v28, 2, v16
	ds_read_b32 v27, v26
	s_waitcnt lgkmcnt(0)
	v_cmp_ne_u32_e32 vcc, -1, v27
	s_and_saveexec_b64 s[30:31], vcc
	s_cbranch_execz .LBB5_23
; %bb.25:                               ;   in Loop: Header=BB5_24 Depth=2
	s_mov_b64 s[34:35], 0
                                        ; implicit-def: $sgpr36_sgpr37
                                        ; implicit-def: $sgpr40_sgpr41
                                        ; implicit-def: $sgpr38_sgpr39
	s_branch .LBB5_27
.LBB5_26:                               ;   in Loop: Header=BB5_27 Depth=3
	s_or_b64 exec, exec, s[42:43]
	s_and_b64 s[42:43], exec, s[40:41]
	s_or_b64 s[34:35], s[42:43], s[34:35]
	s_andn2_b64 s[36:37], s[36:37], exec
	s_and_b64 s[42:43], s[38:39], exec
	s_or_b64 s[36:37], s[36:37], s[42:43]
	s_andn2_b64 exec, exec, s[34:35]
	s_cbranch_execz .LBB5_29
.LBB5_27:                               ;   Parent Loop BB5_17 Depth=1
                                        ;     Parent Loop BB5_24 Depth=2
                                        ; =>    This Inner Loop Header: Depth=3
	v_mov_b32_e32 v26, v28
	v_cmp_ne_u32_e32 vcc, v27, v13
	s_or_b64 s[38:39], s[38:39], exec
	s_or_b64 s[40:41], s[40:41], exec
                                        ; implicit-def: $vgpr28
                                        ; implicit-def: $vgpr27
	s_and_saveexec_b64 s[42:43], vcc
	s_cbranch_execz .LBB5_26
; %bb.28:                               ;   in Loop: Header=BB5_27 Depth=3
	v_add_u32_e32 v27, 1, v26
	v_and_b32_e32 v28, 0x1ff, v27
	v_lshl_add_u32 v27, v28, 2, v16
	ds_read_b32 v27, v27
	s_andn2_b64 s[40:41], s[40:41], exec
	s_andn2_b64 s[38:39], s[38:39], exec
	s_waitcnt lgkmcnt(0)
	v_cmp_eq_u32_e32 vcc, -1, v27
	s_and_b64 s[44:45], vcc, exec
	s_or_b64 s[40:41], s[40:41], s[44:45]
	s_branch .LBB5_26
.LBB5_29:                               ;   in Loop: Header=BB5_24 Depth=2
	s_or_b64 exec, exec, s[34:35]
	s_and_saveexec_b64 s[34:35], s[36:37]
	s_xor_b64 s[34:35], exec, s[34:35]
	s_cbranch_execz .LBB5_22
; %bb.30:                               ;   in Loop: Header=BB5_24 Depth=2
	v_lshl_add_u32 v13, v26, 2, v5
	ds_read_b32 v26, v13
	v_add_co_u32_e32 v14, vcc, s20, v14
	v_addc_co_u32_e32 v15, vcc, v21, v15, vcc
	s_waitcnt lgkmcnt(0)
	v_ashrrev_i32_e32 v27, 31, v26
	v_lshlrev_b64 v[26:27], 2, v[26:27]
	v_add_co_u32_e32 v26, vcc, s20, v26
	v_addc_co_u32_e32 v27, vcc, v21, v27, vcc
	global_load_dword v13, v[14:15], off
	global_load_dword v28, v[26:27], off
	s_waitcnt vmcnt(0)
	v_fmac_f32_e32 v25, v13, v28
	s_branch .LBB5_22
.LBB5_31:                               ;   in Loop: Header=BB5_17 Depth=1
	s_or_b64 exec, exec, s[28:29]
.LBB5_32:                               ;   in Loop: Header=BB5_17 Depth=1
	s_or_b64 exec, exec, s[26:27]
	v_mov_b32_dpp v10, v25 row_shr:1 row_mask:0xf bank_mask:0xf
	v_add_f32_e32 v10, v25, v10
	s_nop 1
	v_mov_b32_dpp v12, v10 row_shr:2 row_mask:0xf bank_mask:0xf
	v_add_f32_e32 v10, v10, v12
	s_nop 1
	;; [unrolled: 3-line block ×4, first 2 shown]
	v_mov_b32_dpp v12, v10 row_bcast:15 row_mask:0xa bank_mask:0xf
	s_and_saveexec_b64 s[26:27], s[0:1]
	s_cbranch_execz .LBB5_15
; %bb.33:                               ;   in Loop: Header=BB5_17 Depth=1
	v_div_scale_f32 v13, s[28:29], v11, v11, 1.0
	v_rcp_f32_e32 v14, v13
	v_div_scale_f32 v15, vcc, 1.0, v11, 1.0
	v_add_f32_e32 v10, v10, v12
	v_fma_f32 v25, -v13, v14, 1.0
	v_fmac_f32_e32 v14, v25, v14
	v_mul_f32_e32 v25, v15, v14
	v_fma_f32 v26, -v13, v25, v15
	v_fmac_f32_e32 v25, v26, v14
	v_fma_f32 v13, -v13, v25, v15
	v_div_fmas_f32 v13, v13, v14, v25
	v_div_fixup_f32 v11, v13, v11, 1.0
	v_sub_f32_e32 v1, v1, v10
	v_mul_f32_e32 v1, v11, v1
	v_fmac_f32_e32 v17, v1, v1
	global_store_dword v[8:9], v1, off
	s_branch .LBB5_15
.LBB5_34:
	s_or_b64 exec, exec, s[10:11]
.LBB5_35:
	s_or_b64 exec, exec, s[6:7]
	v_cmp_eq_u32_e32 vcc, 31, v7
	v_cmp_lt_i32_e64 s[0:1], -1, v6
	s_and_b64 s[0:1], vcc, s[0:1]
	s_and_saveexec_b64 s[6:7], s[0:1]
	s_cbranch_execz .LBB5_46
; %bb.36:
	v_mov_b32_e32 v7, 0
	v_lshlrev_b64 v[0:1], 2, v[6:7]
	v_mov_b32_e32 v5, s21
	v_add_co_u32_e64 v0, s[0:1], s20, v0
	v_addc_co_u32_e64 v1, s[0:1], v5, v1, s[0:1]
	global_load_dword v5, v[0:1], off
	s_load_dwordx2 s[0:1], s[4:5], 0x48
	v_add_u32_e32 v4, s33, v4
	s_waitcnt lgkmcnt(0)
	v_mul_f64 v[6:7], s[0:1], s[0:1]
	s_waitcnt vmcnt(0)
	v_sub_f32_e32 v5, v5, v17
	v_cvt_f64_f32_e32 v[8:9], v5
	v_cmp_ge_f64_e64 s[0:1], v[6:7], v[8:9]
	s_and_saveexec_b64 s[2:3], s[0:1]
	s_cbranch_execz .LBB5_41
; %bb.37:
	s_mov_b64 s[0:1], exec
	s_brev_b32 s4, -2
.LBB5_38:                               ; =>This Inner Loop Header: Depth=1
	s_ff1_i32_b64 s5, s[0:1]
	v_readlane_b32 s16, v4, s5
	s_lshl_b64 s[10:11], 1, s5
	s_min_i32 s4, s4, s16
	s_andn2_b64 s[0:1], s[0:1], s[10:11]
	s_cmp_lg_u64 s[0:1], 0
	s_cbranch_scc1 .LBB5_38
; %bb.39:
	v_mbcnt_lo_u32_b32 v6, exec_lo, 0
	v_mbcnt_hi_u32_b32 v6, exec_hi, v6
	v_cmp_eq_u32_e64 s[0:1], 0, v6
	s_and_saveexec_b64 s[10:11], s[0:1]
	s_xor_b64 s[10:11], exec, s[10:11]
	s_cbranch_execz .LBB5_41
; %bb.40:
	v_mov_b32_e32 v6, 0
	v_mov_b32_e32 v7, s4
	global_atomic_smin v6, v7, s[14:15]
.LBB5_41:
	s_or_b64 exec, exec, s[2:3]
	v_cmp_gt_f32_e64 s[0:1], 0, v5
	v_cndmask_b32_e64 v5, v5, -v5, s[0:1]
	s_mov_b32 s0, 0xf800000
	v_mul_f32_e32 v6, 0x4f800000, v5
	v_cmp_gt_f32_e64 s[0:1], s0, v5
	v_cndmask_b32_e64 v5, v5, v6, s[0:1]
	v_sqrt_f32_e32 v6, v5
	v_add_u32_e32 v7, -1, v6
	v_fma_f32 v8, -v7, v6, v5
	v_cmp_ge_f32_e64 s[2:3], 0, v8
	v_add_u32_e32 v8, 1, v6
	v_cndmask_b32_e64 v7, v6, v7, s[2:3]
	v_fma_f32 v6, -v8, v6, v5
	v_cmp_lt_f32_e64 s[2:3], 0, v6
	v_cndmask_b32_e64 v6, v7, v8, s[2:3]
	v_mul_f32_e32 v7, 0x37800000, v6
	v_cndmask_b32_e64 v6, v6, v7, s[0:1]
	v_mov_b32_e32 v7, 0x260
	v_cmp_class_f32_e64 s[0:1], v5, v7
	v_cndmask_b32_e64 v5, v6, v5, s[0:1]
	v_cmp_eq_f32_e64 s[0:1], 0, v5
	global_store_dword v[0:1], v5, off
	s_and_b64 exec, exec, s[0:1]
	s_cbranch_execz .LBB5_46
; %bb.42:
	s_mov_b64 s[0:1], exec
	s_brev_b32 s2, -2
.LBB5_43:                               ; =>This Inner Loop Header: Depth=1
	s_ff1_i32_b64 s3, s[0:1]
	v_readlane_b32 s10, v4, s3
	s_lshl_b64 s[4:5], 1, s3
	s_min_i32 s2, s2, s10
	s_andn2_b64 s[0:1], s[0:1], s[4:5]
	s_cmp_lg_u64 s[0:1], 0
	s_cbranch_scc1 .LBB5_43
; %bb.44:
	v_mbcnt_lo_u32_b32 v0, exec_lo, 0
	v_mbcnt_hi_u32_b32 v0, exec_hi, v0
	v_cmp_eq_u32_e64 s[0:1], 0, v0
	s_and_saveexec_b64 s[4:5], s[0:1]
	s_xor_b64 s[4:5], exec, s[4:5]
	s_cbranch_execz .LBB5_46
; %bb.45:
	v_mov_b32_e32 v0, 0
	v_mov_b32_e32 v1, s2
	global_atomic_smin v0, v1, s[12:13]
.LBB5_46:
	s_or_b64 exec, exec, s[6:7]
	s_and_b64 exec, exec, vcc
	s_cbranch_execz .LBB5_48
; %bb.47:
	v_mov_b32_e32 v1, s9
	v_add_co_u32_e32 v0, vcc, s8, v2
	v_addc_co_u32_e32 v1, vcc, v1, v3, vcc
	v_mov_b32_e32 v2, 1
	s_waitcnt vmcnt(0)
	global_store_dword v[0:1], v2, off
.LBB5_48:
	s_endpgm
	.section	.rodata,"a",@progbits
	.p2align	6, 0x0
	.amdhsa_kernel _ZN9rocsparseL18csric0_hash_kernelILj256ELj32ELj16EfEEviPKiS2_PT2_S2_PiS2_S5_S5_d21rocsparse_index_base_
		.amdhsa_group_segment_fixed_size 32768
		.amdhsa_private_segment_fixed_size 0
		.amdhsa_kernarg_size 84
		.amdhsa_user_sgpr_count 6
		.amdhsa_user_sgpr_private_segment_buffer 1
		.amdhsa_user_sgpr_dispatch_ptr 0
		.amdhsa_user_sgpr_queue_ptr 0
		.amdhsa_user_sgpr_kernarg_segment_ptr 1
		.amdhsa_user_sgpr_dispatch_id 0
		.amdhsa_user_sgpr_flat_scratch_init 0
		.amdhsa_user_sgpr_kernarg_preload_length 0
		.amdhsa_user_sgpr_kernarg_preload_offset 0
		.amdhsa_user_sgpr_private_segment_size 0
		.amdhsa_uses_dynamic_stack 0
		.amdhsa_system_sgpr_private_segment_wavefront_offset 0
		.amdhsa_system_sgpr_workgroup_id_x 1
		.amdhsa_system_sgpr_workgroup_id_y 0
		.amdhsa_system_sgpr_workgroup_id_z 0
		.amdhsa_system_sgpr_workgroup_info 0
		.amdhsa_system_vgpr_workitem_id 0
		.amdhsa_next_free_vgpr 29
		.amdhsa_next_free_sgpr 46
		.amdhsa_accum_offset 32
		.amdhsa_reserve_vcc 1
		.amdhsa_reserve_flat_scratch 0
		.amdhsa_float_round_mode_32 0
		.amdhsa_float_round_mode_16_64 0
		.amdhsa_float_denorm_mode_32 3
		.amdhsa_float_denorm_mode_16_64 3
		.amdhsa_dx10_clamp 1
		.amdhsa_ieee_mode 1
		.amdhsa_fp16_overflow 0
		.amdhsa_tg_split 0
		.amdhsa_exception_fp_ieee_invalid_op 0
		.amdhsa_exception_fp_denorm_src 0
		.amdhsa_exception_fp_ieee_div_zero 0
		.amdhsa_exception_fp_ieee_overflow 0
		.amdhsa_exception_fp_ieee_underflow 0
		.amdhsa_exception_fp_ieee_inexact 0
		.amdhsa_exception_int_div_zero 0
	.end_amdhsa_kernel
	.section	.text._ZN9rocsparseL18csric0_hash_kernelILj256ELj32ELj16EfEEviPKiS2_PT2_S2_PiS2_S5_S5_d21rocsparse_index_base_,"axG",@progbits,_ZN9rocsparseL18csric0_hash_kernelILj256ELj32ELj16EfEEviPKiS2_PT2_S2_PiS2_S5_S5_d21rocsparse_index_base_,comdat
.Lfunc_end5:
	.size	_ZN9rocsparseL18csric0_hash_kernelILj256ELj32ELj16EfEEviPKiS2_PT2_S2_PiS2_S5_S5_d21rocsparse_index_base_, .Lfunc_end5-_ZN9rocsparseL18csric0_hash_kernelILj256ELj32ELj16EfEEviPKiS2_PT2_S2_PiS2_S5_S5_d21rocsparse_index_base_
                                        ; -- End function
	.section	.AMDGPU.csdata,"",@progbits
; Kernel info:
; codeLenInByte = 1952
; NumSgprs: 50
; NumVgprs: 29
; NumAgprs: 0
; TotalNumVgprs: 29
; ScratchSize: 0
; MemoryBound: 0
; FloatMode: 240
; IeeeMode: 1
; LDSByteSize: 32768 bytes/workgroup (compile time only)
; SGPRBlocks: 6
; VGPRBlocks: 3
; NumSGPRsForWavesPerEU: 50
; NumVGPRsForWavesPerEU: 29
; AccumOffset: 32
; Occupancy: 2
; WaveLimiterHint : 1
; COMPUTE_PGM_RSRC2:SCRATCH_EN: 0
; COMPUTE_PGM_RSRC2:USER_SGPR: 6
; COMPUTE_PGM_RSRC2:TRAP_HANDLER: 0
; COMPUTE_PGM_RSRC2:TGID_X_EN: 1
; COMPUTE_PGM_RSRC2:TGID_Y_EN: 0
; COMPUTE_PGM_RSRC2:TGID_Z_EN: 0
; COMPUTE_PGM_RSRC2:TIDIG_COMP_CNT: 0
; COMPUTE_PGM_RSRC3_GFX90A:ACCUM_OFFSET: 7
; COMPUTE_PGM_RSRC3_GFX90A:TG_SPLIT: 0
	.section	.text._ZN9rocsparseL23csric0_binsearch_kernelILj256ELj32ELb0EfEEviPKiS2_PT2_S2_PiS2_S5_S5_d21rocsparse_index_base_,"axG",@progbits,_ZN9rocsparseL23csric0_binsearch_kernelILj256ELj32ELb0EfEEviPKiS2_PT2_S2_PiS2_S5_S5_d21rocsparse_index_base_,comdat
	.globl	_ZN9rocsparseL23csric0_binsearch_kernelILj256ELj32ELb0EfEEviPKiS2_PT2_S2_PiS2_S5_S5_d21rocsparse_index_base_ ; -- Begin function _ZN9rocsparseL23csric0_binsearch_kernelILj256ELj32ELb0EfEEviPKiS2_PT2_S2_PiS2_S5_S5_d21rocsparse_index_base_
	.p2align	8
	.type	_ZN9rocsparseL23csric0_binsearch_kernelILj256ELj32ELb0EfEEviPKiS2_PT2_S2_PiS2_S5_S5_d21rocsparse_index_base_,@function
_ZN9rocsparseL23csric0_binsearch_kernelILj256ELj32ELb0EfEEviPKiS2_PT2_S2_PiS2_S5_S5_d21rocsparse_index_base_: ; @_ZN9rocsparseL23csric0_binsearch_kernelILj256ELj32ELb0EfEEviPKiS2_PT2_S2_PiS2_S5_S5_d21rocsparse_index_base_
; %bb.0:
	s_load_dword s0, s[4:5], 0x0
	s_lshl_b32 s1, s6, 3
	v_lshrrev_b32_e32 v1, 5, v0
	s_and_b32 s1, s1, 0x7fffff8
	v_or_b32_e32 v1, s1, v1
	s_waitcnt lgkmcnt(0)
	v_cmp_gt_i32_e32 vcc, s0, v1
	s_and_saveexec_b64 s[0:1], vcc
	s_cbranch_execz .LBB6_47
; %bb.1:
	s_load_dwordx8 s[8:15], s[4:5], 0x18
	v_lshlrev_b32_e32 v1, 2, v1
	v_and_b32_e32 v7, 31, v0
	s_waitcnt lgkmcnt(0)
	global_load_dword v4, v1, s[14:15]
	s_load_dwordx2 s[14:15], s[4:5], 0x8
	v_mov_b32_e32 v1, s11
	s_waitcnt lgkmcnt(0)
	v_mov_b32_e32 v6, s15
	s_waitcnt vmcnt(0)
	v_ashrrev_i32_e32 v5, 31, v4
	v_lshlrev_b64 v[2:3], 2, v[4:5]
	v_add_co_u32_e32 v10, vcc, s10, v2
	v_addc_co_u32_e32 v11, vcc, v1, v3, vcc
	v_add_co_u32_e32 v8, vcc, s14, v2
	v_addc_co_u32_e32 v9, vcc, v6, v3, vcc
	global_load_dword v1, v[8:9], off
	global_load_dword v6, v[10:11], off
	s_load_dword s33, s[4:5], 0x50
	s_load_dwordx4 s[16:19], s[4:5], 0x38
	s_load_dwordx2 s[6:7], s[4:5], 0x48
	v_mov_b32_e32 v5, 0
	s_waitcnt vmcnt(1) lgkmcnt(0)
	v_subrev_u32_e32 v18, s33, v1
	s_waitcnt vmcnt(0)
	v_cmp_lt_i32_e32 vcc, v18, v6
	s_and_saveexec_b64 s[20:21], vcc
	s_cbranch_execz .LBB6_34
; %bb.2:
	global_load_dword v0, v[8:9], off offset:4
	s_load_dwordx2 s[22:23], s[4:5], 0x10
	v_add_u32_e32 v19, -1, v6
	v_cmp_eq_u32_e64 s[0:1], 0, v7
	v_subrev_u32_e32 v20, s33, v7
	v_cmp_eq_u32_e64 s[2:3], 31, v7
	s_mov_b64 s[24:25], 0
	v_mov_b32_e32 v21, 0
	v_mov_b32_e32 v22, s9
	;; [unrolled: 1-line block ×6, first 2 shown]
	s_waitcnt lgkmcnt(0)
	v_mov_b32_e32 v26, s23
	s_waitcnt vmcnt(0)
	v_xad_u32 v27, s33, -1, v0
	v_mov_b32_e32 v0, v18
	s_branch .LBB6_5
.LBB6_3:                                ;   in Loop: Header=BB6_5 Depth=1
	s_or_b64 exec, exec, s[28:29]
.LBB6_4:                                ;   in Loop: Header=BB6_5 Depth=1
	s_or_b64 exec, exec, s[26:27]
	v_add_u32_e32 v0, 1, v0
	v_cmp_ge_i32_e32 vcc, v0, v6
	s_xor_b64 s[4:5], s[4:5], -1
	s_or_b64 s[4:5], s[4:5], vcc
	s_and_b64 s[4:5], exec, s[4:5]
	s_or_b64 s[24:25], s[4:5], s[24:25]
	s_andn2_b64 exec, exec, s[24:25]
	s_cbranch_execz .LBB6_33
.LBB6_5:                                ; =>This Loop Header: Depth=1
                                        ;     Child Loop BB6_7 Depth 2
                                        ;     Child Loop BB6_11 Depth 2
	;; [unrolled: 1-line block ×4, first 2 shown]
                                        ;       Child Loop BB6_26 Depth 3
	v_ashrrev_i32_e32 v1, 31, v0
	v_lshlrev_b64 v[8:9], 2, v[0:1]
	v_add_co_u32_e32 v10, vcc, s22, v8
	v_addc_co_u32_e32 v11, vcc, v26, v9, vcc
	global_load_dword v12, v[10:11], off
	v_add_co_u32_e32 v8, vcc, s8, v8
	v_addc_co_u32_e32 v9, vcc, v22, v9, vcc
	global_load_dword v1, v[8:9], off
	s_waitcnt vmcnt(1)
	v_subrev_u32_e32 v10, s33, v12
	v_ashrrev_i32_e32 v11, 31, v10
	v_lshlrev_b64 v[10:11], 2, v[10:11]
	v_add_co_u32_e32 v16, vcc, s14, v10
	v_addc_co_u32_e32 v17, vcc, v23, v11, vcc
	v_add_co_u32_e32 v28, vcc, s10, v10
	v_addc_co_u32_e32 v29, vcc, v24, v11, vcc
	v_add_co_u32_e32 v10, vcc, s12, v10
	v_addc_co_u32_e32 v11, vcc, v25, v11, vcc
	global_load_dword v13, v[16:17], off
	global_load_dword v14, v[28:29], off
	global_load_dword v15, v[10:11], off glc
	s_waitcnt vmcnt(0)
	v_cmp_eq_u32_e32 vcc, 0, v15
	s_and_saveexec_b64 s[4:5], vcc
	s_cbranch_execz .LBB6_8
; %bb.6:                                ;   in Loop: Header=BB6_5 Depth=1
	s_mov_b64 s[26:27], 0
.LBB6_7:                                ;   Parent Loop BB6_5 Depth=1
                                        ; =>  This Inner Loop Header: Depth=2
	global_load_dword v15, v[10:11], off glc
	s_waitcnt vmcnt(0)
	v_cmp_ne_u32_e32 vcc, 0, v15
	s_or_b64 s[26:27], vcc, s[26:27]
	s_andn2_b64 exec, exec, s[26:27]
	s_cbranch_execnz .LBB6_7
.LBB6_8:                                ;   in Loop: Header=BB6_5 Depth=1
	s_or_b64 exec, exec, s[4:5]
	v_cmp_eq_u32_e32 vcc, -1, v14
	v_cndmask_b32_e32 v10, v14, v19, vcc
	v_ashrrev_i32_e32 v11, 31, v10
	v_lshlrev_b64 v[14:15], 2, v[10:11]
	v_add_co_u32_e32 v14, vcc, s8, v14
	v_addc_co_u32_e32 v15, vcc, v22, v15, vcc
	buffer_wbinvl1_vol
	global_load_dword v11, v[14:15], off
	s_waitcnt vmcnt(0)
	v_cmp_neq_f32_e64 s[4:5], 0, v11
	v_cmp_eq_f32_e32 vcc, 0, v11
	s_and_saveexec_b64 s[26:27], vcc
	s_xor_b64 s[26:27], exec, s[26:27]
	s_cbranch_execz .LBB6_15
; %bb.9:                                ;   in Loop: Header=BB6_5 Depth=1
	s_and_saveexec_b64 s[28:29], s[0:1]
	s_cbranch_execz .LBB6_14
; %bb.10:                               ;   in Loop: Header=BB6_5 Depth=1
	s_mov_b64 s[30:31], exec
	s_brev_b32 s11, -2
.LBB6_11:                               ;   Parent Loop BB6_5 Depth=1
                                        ; =>  This Inner Loop Header: Depth=2
	s_ff1_i32_b64 s15, s[30:31]
	v_readlane_b32 s36, v12, s15
	s_lshl_b64 s[34:35], 1, s15
	s_min_i32 s11, s11, s36
	s_andn2_b64 s[30:31], s[30:31], s[34:35]
	s_cmp_lg_u64 s[30:31], 0
	s_cbranch_scc1 .LBB6_11
; %bb.12:                               ;   in Loop: Header=BB6_5 Depth=1
	v_mbcnt_lo_u32_b32 v1, exec_lo, 0
	v_mbcnt_hi_u32_b32 v1, exec_hi, v1
	v_cmp_eq_u32_e32 vcc, 0, v1
	s_and_saveexec_b64 s[30:31], vcc
	s_xor_b64 s[30:31], exec, s[30:31]
	s_cbranch_execz .LBB6_14
; %bb.13:                               ;   in Loop: Header=BB6_5 Depth=1
	v_mov_b32_e32 v1, s11
	global_atomic_smin v21, v1, s[16:17]
.LBB6_14:                               ;   in Loop: Header=BB6_5 Depth=1
	s_or_b64 exec, exec, s[28:29]
                                        ; implicit-def: $vgpr11
                                        ; implicit-def: $vgpr1
                                        ; implicit-def: $vgpr8_vgpr9
                                        ; implicit-def: $vgpr13
                                        ; implicit-def: $vgpr10
                                        ; implicit-def: $vgpr12
.LBB6_15:                               ;   in Loop: Header=BB6_5 Depth=1
	s_andn2_saveexec_b64 s[26:27], s[26:27]
	s_cbranch_execz .LBB6_4
; %bb.16:                               ;   in Loop: Header=BB6_5 Depth=1
	v_cvt_f64_f32_e32 v[14:15], v11
	v_cmp_ge_f64_e32 vcc, s[6:7], v[14:15]
	s_and_b64 s[30:31], s[0:1], vcc
	s_and_saveexec_b64 s[28:29], s[30:31]
	s_cbranch_execz .LBB6_21
; %bb.17:                               ;   in Loop: Header=BB6_5 Depth=1
	s_mov_b64 s[30:31], exec
	s_brev_b32 s11, -2
.LBB6_18:                               ;   Parent Loop BB6_5 Depth=1
                                        ; =>  This Inner Loop Header: Depth=2
	s_ff1_i32_b64 s15, s[30:31]
	v_readlane_b32 s36, v12, s15
	s_lshl_b64 s[34:35], 1, s15
	s_min_i32 s11, s11, s36
	s_andn2_b64 s[30:31], s[30:31], s[34:35]
	s_cmp_lg_u64 s[30:31], 0
	s_cbranch_scc1 .LBB6_18
; %bb.19:                               ;   in Loop: Header=BB6_5 Depth=1
	v_mbcnt_lo_u32_b32 v12, exec_lo, 0
	v_mbcnt_hi_u32_b32 v12, exec_hi, v12
	v_cmp_eq_u32_e32 vcc, 0, v12
	s_and_saveexec_b64 s[30:31], vcc
	s_xor_b64 s[30:31], exec, s[30:31]
	s_cbranch_execz .LBB6_21
; %bb.20:                               ;   in Loop: Header=BB6_5 Depth=1
	v_mov_b32_e32 v12, s11
	global_atomic_smin v21, v12, s[18:19]
.LBB6_21:                               ;   in Loop: Header=BB6_5 Depth=1
	s_or_b64 exec, exec, s[28:29]
	v_add_u32_e32 v12, v20, v13
	v_cmp_lt_i32_e32 vcc, v12, v10
	v_mov_b32_e32 v28, 0
	s_and_saveexec_b64 s[28:29], vcc
	s_cbranch_execz .LBB6_31
; %bb.22:                               ;   in Loop: Header=BB6_5 Depth=1
	s_mov_b64 s[30:31], 0
	v_mov_b32_e32 v28, 0
	v_mov_b32_e32 v29, v18
	s_branch .LBB6_24
.LBB6_23:                               ;   in Loop: Header=BB6_24 Depth=2
	s_or_b64 exec, exec, s[34:35]
	v_add_u32_e32 v12, 32, v12
	v_cmp_ge_i32_e32 vcc, v12, v10
	s_or_b64 s[30:31], vcc, s[30:31]
	s_andn2_b64 exec, exec, s[30:31]
	s_cbranch_execz .LBB6_30
.LBB6_24:                               ;   Parent Loop BB6_5 Depth=1
                                        ; =>  This Loop Header: Depth=2
                                        ;       Child Loop BB6_26 Depth 3
	v_add_u32_e32 v16, v29, v27
	v_ashrrev_i32_e32 v13, 31, v12
	v_lshlrev_b64 v[14:15], 2, v[12:13]
	v_ashrrev_i32_e32 v16, 1, v16
	v_add_co_u32_e32 v32, vcc, s22, v14
	v_ashrrev_i32_e32 v17, 31, v16
	v_addc_co_u32_e32 v33, vcc, v26, v15, vcc
	v_lshlrev_b64 v[30:31], 2, v[16:17]
	v_add_co_u32_e32 v34, vcc, s22, v30
	v_addc_co_u32_e32 v35, vcc, v26, v31, vcc
	global_load_dword v13, v[32:33], off
	global_load_dword v30, v[34:35], off
	v_cmp_lt_i32_e32 vcc, v29, v27
	s_and_saveexec_b64 s[34:35], vcc
	s_cbranch_execz .LBB6_28
; %bb.25:                               ;   in Loop: Header=BB6_24 Depth=2
	s_mov_b64 s[36:37], 0
	v_mov_b32_e32 v31, v27
.LBB6_26:                               ;   Parent Loop BB6_5 Depth=1
                                        ;     Parent Loop BB6_24 Depth=2
                                        ; =>    This Inner Loop Header: Depth=3
	v_add_u32_e32 v17, 1, v16
	s_waitcnt vmcnt(0)
	v_cmp_lt_i32_e32 vcc, v30, v13
	v_cndmask_b32_e32 v29, v29, v17, vcc
	v_cndmask_b32_e32 v31, v16, v31, vcc
	v_add_u32_e32 v16, v31, v29
	v_ashrrev_i32_e32 v16, 1, v16
	v_ashrrev_i32_e32 v17, 31, v16
	v_lshlrev_b64 v[32:33], 2, v[16:17]
	v_mov_b32_e32 v30, s23
	v_add_co_u32_e32 v32, vcc, s22, v32
	v_addc_co_u32_e32 v33, vcc, v30, v33, vcc
	global_load_dword v30, v[32:33], off
	v_cmp_ge_i32_e32 vcc, v29, v31
	s_or_b64 s[36:37], vcc, s[36:37]
	s_andn2_b64 exec, exec, s[36:37]
	s_cbranch_execnz .LBB6_26
; %bb.27:                               ;   in Loop: Header=BB6_24 Depth=2
	s_or_b64 exec, exec, s[36:37]
.LBB6_28:                               ;   in Loop: Header=BB6_24 Depth=2
	s_or_b64 exec, exec, s[34:35]
	s_waitcnt vmcnt(0)
	v_cmp_eq_u32_e32 vcc, v30, v13
	s_and_saveexec_b64 s[34:35], vcc
	s_cbranch_execz .LBB6_23
; %bb.29:                               ;   in Loop: Header=BB6_24 Depth=2
	v_lshlrev_b64 v[16:17], 2, v[16:17]
	v_mov_b32_e32 v13, s9
	v_add_co_u32_e32 v16, vcc, s8, v16
	v_addc_co_u32_e32 v17, vcc, v13, v17, vcc
	v_add_co_u32_e32 v14, vcc, s8, v14
	v_addc_co_u32_e32 v15, vcc, v13, v15, vcc
	global_load_dword v13, v[14:15], off
	global_load_dword v30, v[16:17], off
	s_waitcnt vmcnt(0)
	v_fmac_f32_e32 v28, v13, v30
	s_branch .LBB6_23
.LBB6_30:                               ;   in Loop: Header=BB6_5 Depth=1
	s_or_b64 exec, exec, s[30:31]
.LBB6_31:                               ;   in Loop: Header=BB6_5 Depth=1
	s_or_b64 exec, exec, s[28:29]
	v_mov_b32_dpp v10, v28 row_shr:1 row_mask:0xf bank_mask:0xf
	v_add_f32_e32 v10, v28, v10
	s_nop 1
	v_mov_b32_dpp v12, v10 row_shr:2 row_mask:0xf bank_mask:0xf
	v_add_f32_e32 v10, v10, v12
	s_nop 1
	;; [unrolled: 3-line block ×4, first 2 shown]
	v_mov_b32_dpp v12, v10 row_bcast:15 row_mask:0xa bank_mask:0xf
	s_and_saveexec_b64 s[28:29], s[2:3]
	s_cbranch_execz .LBB6_3
; %bb.32:                               ;   in Loop: Header=BB6_5 Depth=1
	v_div_scale_f32 v13, s[30:31], v11, v11, 1.0
	v_rcp_f32_e32 v14, v13
	v_div_scale_f32 v15, vcc, 1.0, v11, 1.0
	v_add_f32_e32 v10, v10, v12
	v_fma_f32 v16, -v13, v14, 1.0
	v_fmac_f32_e32 v14, v16, v14
	v_mul_f32_e32 v16, v15, v14
	v_fma_f32 v17, -v13, v16, v15
	v_fmac_f32_e32 v16, v17, v14
	v_fma_f32 v13, -v13, v16, v15
	v_div_fmas_f32 v13, v13, v14, v16
	v_div_fixup_f32 v11, v13, v11, 1.0
	v_sub_f32_e32 v1, v1, v10
	v_mul_f32_e32 v1, v11, v1
	v_fmac_f32_e32 v5, v1, v1
	global_store_dword v[8:9], v1, off
	s_branch .LBB6_3
.LBB6_33:
	s_or_b64 exec, exec, s[24:25]
.LBB6_34:
	s_or_b64 exec, exec, s[20:21]
	v_cmp_eq_u32_e32 vcc, 31, v7
	v_cmp_lt_i32_e64 s[0:1], -1, v6
	s_and_b64 s[0:1], vcc, s[0:1]
	s_and_saveexec_b64 s[4:5], s[0:1]
	s_cbranch_execz .LBB6_45
; %bb.35:
	v_mov_b32_e32 v7, 0
	v_lshlrev_b64 v[0:1], 2, v[6:7]
	v_mov_b32_e32 v6, s9
	v_add_co_u32_e64 v0, s[0:1], s8, v0
	v_addc_co_u32_e64 v1, s[0:1], v6, v1, s[0:1]
	global_load_dword v8, v[0:1], off
	v_mul_f64 v[6:7], s[6:7], s[6:7]
	v_add_u32_e32 v4, s33, v4
	s_waitcnt vmcnt(0)
	v_sub_f32_e32 v5, v8, v5
	v_cvt_f64_f32_e32 v[8:9], v5
	v_cmp_ge_f64_e64 s[0:1], v[6:7], v[8:9]
	s_and_saveexec_b64 s[2:3], s[0:1]
	s_cbranch_execz .LBB6_40
; %bb.36:
	s_mov_b64 s[0:1], exec
	s_brev_b32 s6, -2
.LBB6_37:                               ; =>This Inner Loop Header: Depth=1
	s_ff1_i32_b64 s7, s[0:1]
	v_readlane_b32 s10, v4, s7
	s_lshl_b64 s[8:9], 1, s7
	s_min_i32 s6, s6, s10
	s_andn2_b64 s[0:1], s[0:1], s[8:9]
	s_cmp_lg_u64 s[0:1], 0
	s_cbranch_scc1 .LBB6_37
; %bb.38:
	v_mbcnt_lo_u32_b32 v6, exec_lo, 0
	v_mbcnt_hi_u32_b32 v6, exec_hi, v6
	v_cmp_eq_u32_e64 s[0:1], 0, v6
	s_and_saveexec_b64 s[8:9], s[0:1]
	s_xor_b64 s[8:9], exec, s[8:9]
	s_cbranch_execz .LBB6_40
; %bb.39:
	v_mov_b32_e32 v6, 0
	v_mov_b32_e32 v7, s6
	global_atomic_smin v6, v7, s[18:19]
.LBB6_40:
	s_or_b64 exec, exec, s[2:3]
	v_cmp_gt_f32_e64 s[0:1], 0, v5
	v_cndmask_b32_e64 v5, v5, -v5, s[0:1]
	s_mov_b32 s0, 0xf800000
	v_mul_f32_e32 v6, 0x4f800000, v5
	v_cmp_gt_f32_e64 s[0:1], s0, v5
	v_cndmask_b32_e64 v5, v5, v6, s[0:1]
	v_sqrt_f32_e32 v6, v5
	v_add_u32_e32 v7, -1, v6
	v_fma_f32 v8, -v7, v6, v5
	v_cmp_ge_f32_e64 s[2:3], 0, v8
	v_add_u32_e32 v8, 1, v6
	v_cndmask_b32_e64 v7, v6, v7, s[2:3]
	v_fma_f32 v6, -v8, v6, v5
	v_cmp_lt_f32_e64 s[2:3], 0, v6
	v_cndmask_b32_e64 v6, v7, v8, s[2:3]
	v_mul_f32_e32 v7, 0x37800000, v6
	v_cndmask_b32_e64 v6, v6, v7, s[0:1]
	v_mov_b32_e32 v7, 0x260
	v_cmp_class_f32_e64 s[0:1], v5, v7
	v_cndmask_b32_e64 v5, v6, v5, s[0:1]
	v_cmp_eq_f32_e64 s[0:1], 0, v5
	global_store_dword v[0:1], v5, off
	s_and_b64 exec, exec, s[0:1]
	s_cbranch_execz .LBB6_45
; %bb.41:
	s_mov_b64 s[0:1], exec
	s_brev_b32 s2, -2
.LBB6_42:                               ; =>This Inner Loop Header: Depth=1
	s_ff1_i32_b64 s3, s[0:1]
	v_readlane_b32 s8, v4, s3
	s_lshl_b64 s[6:7], 1, s3
	s_min_i32 s2, s2, s8
	s_andn2_b64 s[0:1], s[0:1], s[6:7]
	s_cmp_lg_u64 s[0:1], 0
	s_cbranch_scc1 .LBB6_42
; %bb.43:
	v_mbcnt_lo_u32_b32 v0, exec_lo, 0
	v_mbcnt_hi_u32_b32 v0, exec_hi, v0
	v_cmp_eq_u32_e64 s[0:1], 0, v0
	s_and_saveexec_b64 s[6:7], s[0:1]
	s_xor_b64 s[6:7], exec, s[6:7]
	s_cbranch_execz .LBB6_45
; %bb.44:
	v_mov_b32_e32 v0, 0
	v_mov_b32_e32 v1, s2
	global_atomic_smin v0, v1, s[16:17]
.LBB6_45:
	s_or_b64 exec, exec, s[4:5]
	s_and_b64 exec, exec, vcc
	s_cbranch_execz .LBB6_47
; %bb.46:
	v_mov_b32_e32 v1, s13
	v_add_co_u32_e32 v0, vcc, s12, v2
	v_addc_co_u32_e32 v1, vcc, v1, v3, vcc
	v_mov_b32_e32 v2, 1
	s_waitcnt vmcnt(0)
	global_store_dword v[0:1], v2, off
.LBB6_47:
	s_endpgm
	.section	.rodata,"a",@progbits
	.p2align	6, 0x0
	.amdhsa_kernel _ZN9rocsparseL23csric0_binsearch_kernelILj256ELj32ELb0EfEEviPKiS2_PT2_S2_PiS2_S5_S5_d21rocsparse_index_base_
		.amdhsa_group_segment_fixed_size 0
		.amdhsa_private_segment_fixed_size 0
		.amdhsa_kernarg_size 84
		.amdhsa_user_sgpr_count 6
		.amdhsa_user_sgpr_private_segment_buffer 1
		.amdhsa_user_sgpr_dispatch_ptr 0
		.amdhsa_user_sgpr_queue_ptr 0
		.amdhsa_user_sgpr_kernarg_segment_ptr 1
		.amdhsa_user_sgpr_dispatch_id 0
		.amdhsa_user_sgpr_flat_scratch_init 0
		.amdhsa_user_sgpr_kernarg_preload_length 0
		.amdhsa_user_sgpr_kernarg_preload_offset 0
		.amdhsa_user_sgpr_private_segment_size 0
		.amdhsa_uses_dynamic_stack 0
		.amdhsa_system_sgpr_private_segment_wavefront_offset 0
		.amdhsa_system_sgpr_workgroup_id_x 1
		.amdhsa_system_sgpr_workgroup_id_y 0
		.amdhsa_system_sgpr_workgroup_id_z 0
		.amdhsa_system_sgpr_workgroup_info 0
		.amdhsa_system_vgpr_workitem_id 0
		.amdhsa_next_free_vgpr 36
		.amdhsa_next_free_sgpr 38
		.amdhsa_accum_offset 36
		.amdhsa_reserve_vcc 1
		.amdhsa_reserve_flat_scratch 0
		.amdhsa_float_round_mode_32 0
		.amdhsa_float_round_mode_16_64 0
		.amdhsa_float_denorm_mode_32 3
		.amdhsa_float_denorm_mode_16_64 3
		.amdhsa_dx10_clamp 1
		.amdhsa_ieee_mode 1
		.amdhsa_fp16_overflow 0
		.amdhsa_tg_split 0
		.amdhsa_exception_fp_ieee_invalid_op 0
		.amdhsa_exception_fp_denorm_src 0
		.amdhsa_exception_fp_ieee_div_zero 0
		.amdhsa_exception_fp_ieee_overflow 0
		.amdhsa_exception_fp_ieee_underflow 0
		.amdhsa_exception_fp_ieee_inexact 0
		.amdhsa_exception_int_div_zero 0
	.end_amdhsa_kernel
	.section	.text._ZN9rocsparseL23csric0_binsearch_kernelILj256ELj32ELb0EfEEviPKiS2_PT2_S2_PiS2_S5_S5_d21rocsparse_index_base_,"axG",@progbits,_ZN9rocsparseL23csric0_binsearch_kernelILj256ELj32ELb0EfEEviPKiS2_PT2_S2_PiS2_S5_S5_d21rocsparse_index_base_,comdat
.Lfunc_end6:
	.size	_ZN9rocsparseL23csric0_binsearch_kernelILj256ELj32ELb0EfEEviPKiS2_PT2_S2_PiS2_S5_S5_d21rocsparse_index_base_, .Lfunc_end6-_ZN9rocsparseL23csric0_binsearch_kernelILj256ELj32ELb0EfEEviPKiS2_PT2_S2_PiS2_S5_S5_d21rocsparse_index_base_
                                        ; -- End function
	.section	.AMDGPU.csdata,"",@progbits
; Kernel info:
; codeLenInByte = 1780
; NumSgprs: 42
; NumVgprs: 36
; NumAgprs: 0
; TotalNumVgprs: 36
; ScratchSize: 0
; MemoryBound: 0
; FloatMode: 240
; IeeeMode: 1
; LDSByteSize: 0 bytes/workgroup (compile time only)
; SGPRBlocks: 5
; VGPRBlocks: 4
; NumSGPRsForWavesPerEU: 42
; NumVGPRsForWavesPerEU: 36
; AccumOffset: 36
; Occupancy: 8
; WaveLimiterHint : 1
; COMPUTE_PGM_RSRC2:SCRATCH_EN: 0
; COMPUTE_PGM_RSRC2:USER_SGPR: 6
; COMPUTE_PGM_RSRC2:TRAP_HANDLER: 0
; COMPUTE_PGM_RSRC2:TGID_X_EN: 1
; COMPUTE_PGM_RSRC2:TGID_Y_EN: 0
; COMPUTE_PGM_RSRC2:TGID_Z_EN: 0
; COMPUTE_PGM_RSRC2:TIDIG_COMP_CNT: 0
; COMPUTE_PGM_RSRC3_GFX90A:ACCUM_OFFSET: 8
; COMPUTE_PGM_RSRC3_GFX90A:TG_SPLIT: 0
	.section	.text._ZN9rocsparseL18csric0_hash_kernelILj256ELj64ELj1EfEEviPKiS2_PT2_S2_PiS2_S5_S5_d21rocsparse_index_base_,"axG",@progbits,_ZN9rocsparseL18csric0_hash_kernelILj256ELj64ELj1EfEEviPKiS2_PT2_S2_PiS2_S5_S5_d21rocsparse_index_base_,comdat
	.globl	_ZN9rocsparseL18csric0_hash_kernelILj256ELj64ELj1EfEEviPKiS2_PT2_S2_PiS2_S5_S5_d21rocsparse_index_base_ ; -- Begin function _ZN9rocsparseL18csric0_hash_kernelILj256ELj64ELj1EfEEviPKiS2_PT2_S2_PiS2_S5_S5_d21rocsparse_index_base_
	.p2align	8
	.type	_ZN9rocsparseL18csric0_hash_kernelILj256ELj64ELj1EfEEviPKiS2_PT2_S2_PiS2_S5_S5_d21rocsparse_index_base_,@function
_ZN9rocsparseL18csric0_hash_kernelILj256ELj64ELj1EfEEviPKiS2_PT2_S2_PiS2_S5_S5_d21rocsparse_index_base_: ; @_ZN9rocsparseL18csric0_hash_kernelILj256ELj64ELj1EfEEviPKiS2_PT2_S2_PiS2_S5_S5_d21rocsparse_index_base_
; %bb.0:
	s_load_dword s0, s[4:5], 0x0
	s_lshl_b32 s1, s6, 2
	v_and_b32_e32 v5, 63, v0
	v_and_b32_e32 v6, 0xc0, v0
	v_mov_b32_e32 v1, 0x400
	v_lshrrev_b32_e32 v0, 6, v0
	s_and_b32 s1, s1, 0x3fffffc
	v_lshl_or_b32 v16, v6, 2, v1
	v_or_b32_e32 v0, s1, v0
	v_lshl_or_b32 v1, v5, 2, v16
	v_mov_b32_e32 v2, -1
	s_waitcnt lgkmcnt(0)
	v_cmp_gt_i32_e32 vcc, s0, v0
	ds_write_b32 v1, v2
	s_waitcnt lgkmcnt(0)
	s_and_saveexec_b64 s[0:1], vcc
	s_cbranch_execz .LBB7_46
; %bb.1:
	s_load_dwordx8 s[8:15], s[4:5], 0x28
	v_lshlrev_b32_e32 v0, 2, v0
	s_load_dwordx8 s[16:23], s[4:5], 0x8
	s_load_dword s33, s[4:5], 0x50
	s_waitcnt lgkmcnt(0)
	global_load_dword v2, v0, s[10:11]
	v_mov_b32_e32 v7, s17
	v_mov_b32_e32 v4, s23
	s_waitcnt vmcnt(0)
	v_ashrrev_i32_e32 v3, 31, v2
	v_lshlrev_b64 v[0:1], 2, v[2:3]
	v_add_co_u32_e32 v8, vcc, s16, v0
	v_addc_co_u32_e32 v9, vcc, v7, v1, vcc
	global_load_dwordx2 v[8:9], v[8:9], off
	v_add_co_u32_e32 v10, vcc, s22, v0
	v_addc_co_u32_e32 v11, vcc, v4, v1, vcc
	global_load_dword v4, v[10:11], off
	v_lshlrev_b32_e32 v3, 2, v6
	s_waitcnt vmcnt(1)
	v_subrev_u32_e32 v6, s33, v8
	v_subrev_u32_e32 v7, s33, v9
	v_add_u32_e32 v8, v6, v5
	v_cmp_lt_i32_e32 vcc, v8, v7
	s_and_saveexec_b64 s[0:1], vcc
	s_cbranch_execz .LBB7_11
; %bb.2:
	s_mov_b64 s[2:3], 0
	v_mov_b32_e32 v10, s19
	v_mov_b32_e32 v11, -1
	s_branch .LBB7_4
.LBB7_3:                                ;   in Loop: Header=BB7_4 Depth=1
	s_or_b64 exec, exec, s[6:7]
	v_add_u32_e32 v8, 64, v8
	v_cmp_ge_i32_e32 vcc, v8, v7
	s_or_b64 s[2:3], vcc, s[2:3]
	s_andn2_b64 exec, exec, s[2:3]
	s_cbranch_execz .LBB7_11
.LBB7_4:                                ; =>This Loop Header: Depth=1
                                        ;     Child Loop BB7_7 Depth 2
	v_ashrrev_i32_e32 v9, 31, v8
	v_lshlrev_b64 v[12:13], 2, v[8:9]
	v_add_co_u32_e32 v12, vcc, s18, v12
	v_addc_co_u32_e32 v13, vcc, v10, v13, vcc
	global_load_dword v9, v[12:13], off
	s_waitcnt vmcnt(0)
	v_mul_lo_u32 v12, v9, 39
	v_and_b32_e32 v12, 63, v12
	v_lshl_add_u32 v13, v12, 2, v16
	ds_read_b32 v14, v13
	s_waitcnt lgkmcnt(0)
	v_cmp_ne_u32_e32 vcc, v14, v9
	s_and_saveexec_b64 s[6:7], vcc
	s_cbranch_execz .LBB7_3
; %bb.5:                                ;   in Loop: Header=BB7_4 Depth=1
	s_mov_b64 s[10:11], 0
                                        ; implicit-def: $sgpr24_sgpr25
                                        ; implicit-def: $sgpr28_sgpr29
                                        ; implicit-def: $sgpr26_sgpr27
	s_branch .LBB7_7
.LBB7_6:                                ;   in Loop: Header=BB7_7 Depth=2
	s_or_b64 exec, exec, s[30:31]
	s_and_b64 s[30:31], exec, s[28:29]
	s_or_b64 s[10:11], s[30:31], s[10:11]
	s_andn2_b64 s[24:25], s[24:25], exec
	s_and_b64 s[30:31], s[26:27], exec
	s_or_b64 s[24:25], s[24:25], s[30:31]
	s_andn2_b64 exec, exec, s[10:11]
	s_cbranch_execz .LBB7_9
.LBB7_7:                                ;   Parent Loop BB7_4 Depth=1
                                        ; =>  This Inner Loop Header: Depth=2
	ds_cmpst_rtn_b32 v13, v13, v11, v9
	v_mov_b32_e32 v14, v12
	s_or_b64 s[26:27], s[26:27], exec
	s_or_b64 s[28:29], s[28:29], exec
                                        ; implicit-def: $vgpr12
	s_waitcnt lgkmcnt(0)
	v_cmp_ne_u32_e32 vcc, -1, v13
                                        ; implicit-def: $vgpr13
	s_and_saveexec_b64 s[30:31], vcc
	s_cbranch_execz .LBB7_6
; %bb.8:                                ;   in Loop: Header=BB7_7 Depth=2
	v_add_u32_e32 v12, 1, v14
	v_and_b32_e32 v12, 63, v12
	v_lshl_add_u32 v13, v12, 2, v16
	ds_read_b32 v15, v13
	s_andn2_b64 s[28:29], s[28:29], exec
	s_andn2_b64 s[26:27], s[26:27], exec
	s_waitcnt lgkmcnt(0)
	v_cmp_eq_u32_e32 vcc, v15, v9
	s_and_b64 s[34:35], vcc, exec
	s_or_b64 s[28:29], s[28:29], s[34:35]
	s_branch .LBB7_6
.LBB7_9:                                ;   in Loop: Header=BB7_4 Depth=1
	s_or_b64 exec, exec, s[10:11]
	s_and_saveexec_b64 s[10:11], s[24:25]
	s_xor_b64 s[10:11], exec, s[10:11]
	s_cbranch_execz .LBB7_3
; %bb.10:                               ;   in Loop: Header=BB7_4 Depth=1
	v_lshl_add_u32 v9, v14, 2, v3
	ds_write_b32 v9, v8
	s_branch .LBB7_3
.LBB7_11:
	s_or_b64 exec, exec, s[0:1]
	s_waitcnt vmcnt(0)
	v_cmp_lt_i32_e32 vcc, v6, v4
	v_mov_b32_e32 v17, 0
	s_waitcnt lgkmcnt(0)
	s_and_saveexec_b64 s[6:7], vcc
	s_cbranch_execz .LBB7_33
; %bb.12:
	v_add_u32_e32 v18, -1, v4
	v_subrev_u32_e32 v19, s33, v5
	v_cmp_eq_u32_e64 s[0:1], 63, v5
	s_mov_b64 s[10:11], 0
	v_mov_b32_e32 v17, 0
	v_mov_b32_e32 v20, s19
	v_mov_b32_e32 v21, s21
	v_mov_b32_e32 v22, s17
	v_mov_b32_e32 v23, s23
	v_mov_b32_e32 v24, s9
	s_branch .LBB7_15
.LBB7_13:                               ;   in Loop: Header=BB7_15 Depth=1
	s_or_b64 exec, exec, s[26:27]
.LBB7_14:                               ;   in Loop: Header=BB7_15 Depth=1
	s_or_b64 exec, exec, s[24:25]
	v_add_u32_e32 v6, 1, v6
	v_cmp_ge_i32_e32 vcc, v6, v4
	s_xor_b64 s[2:3], s[2:3], -1
	s_or_b64 s[2:3], s[2:3], vcc
	s_and_b64 s[2:3], exec, s[2:3]
	s_or_b64 s[10:11], s[2:3], s[10:11]
	s_andn2_b64 exec, exec, s[10:11]
	s_cbranch_execz .LBB7_32
.LBB7_15:                               ; =>This Loop Header: Depth=1
                                        ;     Child Loop BB7_16 Depth 2
                                        ;     Child Loop BB7_22 Depth 2
                                        ;       Child Loop BB7_25 Depth 3
	v_ashrrev_i32_e32 v7, 31, v6
	v_lshlrev_b64 v[8:9], 2, v[6:7]
	v_add_co_u32_e32 v10, vcc, s18, v8
	v_addc_co_u32_e32 v11, vcc, v20, v9, vcc
	global_load_dword v10, v[10:11], off
	v_add_co_u32_e32 v8, vcc, s20, v8
	v_addc_co_u32_e32 v9, vcc, v21, v9, vcc
	global_load_dword v7, v[8:9], off
	s_mov_b64 s[2:3], 0
	s_waitcnt vmcnt(1)
	v_subrev_u32_e32 v10, s33, v10
	v_ashrrev_i32_e32 v11, 31, v10
	v_lshlrev_b64 v[10:11], 2, v[10:11]
	v_add_co_u32_e32 v14, vcc, s16, v10
	v_addc_co_u32_e32 v15, vcc, v22, v11, vcc
	v_add_co_u32_e32 v26, vcc, s22, v10
	v_addc_co_u32_e32 v27, vcc, v23, v11, vcc
	global_load_dword v12, v[14:15], off
	global_load_dword v13, v[26:27], off
	v_add_co_u32_e32 v10, vcc, s8, v10
	v_addc_co_u32_e32 v11, vcc, v24, v11, vcc
.LBB7_16:                               ;   Parent Loop BB7_15 Depth=1
                                        ; =>  This Inner Loop Header: Depth=2
	global_load_dword v14, v[10:11], off glc
	s_waitcnt vmcnt(0)
	v_cmp_ne_u32_e32 vcc, 0, v14
	s_or_b64 s[2:3], vcc, s[2:3]
	s_andn2_b64 exec, exec, s[2:3]
	s_cbranch_execnz .LBB7_16
; %bb.17:                               ;   in Loop: Header=BB7_15 Depth=1
	s_or_b64 exec, exec, s[2:3]
	v_cmp_eq_u32_e32 vcc, -1, v13
	v_cndmask_b32_e32 v10, v13, v18, vcc
	v_ashrrev_i32_e32 v11, 31, v10
	v_lshlrev_b64 v[14:15], 2, v[10:11]
	v_add_co_u32_e32 v14, vcc, s20, v14
	v_addc_co_u32_e32 v15, vcc, v21, v15, vcc
	buffer_wbinvl1_vol
	global_load_dword v11, v[14:15], off
	s_waitcnt vmcnt(0)
	v_cmp_neq_f32_e64 s[2:3], 0, v11
	s_and_saveexec_b64 s[24:25], s[2:3]
	s_cbranch_execz .LBB7_14
; %bb.18:                               ;   in Loop: Header=BB7_15 Depth=1
	v_add_u32_e32 v12, v19, v12
	v_cmp_lt_i32_e32 vcc, v12, v10
	v_mov_b32_e32 v25, 0
	s_and_saveexec_b64 s[26:27], vcc
	s_cbranch_execz .LBB7_30
; %bb.19:                               ;   in Loop: Header=BB7_15 Depth=1
	s_mov_b64 s[28:29], 0
	v_mov_b32_e32 v25, 0
	s_branch .LBB7_22
.LBB7_20:                               ;   in Loop: Header=BB7_22 Depth=2
	s_or_b64 exec, exec, s[34:35]
.LBB7_21:                               ;   in Loop: Header=BB7_22 Depth=2
	s_or_b64 exec, exec, s[30:31]
	v_add_u32_e32 v12, 64, v12
	v_cmp_ge_i32_e32 vcc, v12, v10
	s_or_b64 s[28:29], vcc, s[28:29]
	s_andn2_b64 exec, exec, s[28:29]
	s_cbranch_execz .LBB7_29
.LBB7_22:                               ;   Parent Loop BB7_15 Depth=1
                                        ; =>  This Loop Header: Depth=2
                                        ;       Child Loop BB7_25 Depth 3
	v_ashrrev_i32_e32 v13, 31, v12
	v_lshlrev_b64 v[14:15], 2, v[12:13]
	v_add_co_u32_e32 v26, vcc, s18, v14
	v_addc_co_u32_e32 v27, vcc, v20, v15, vcc
	global_load_dword v13, v[26:27], off
	s_waitcnt vmcnt(0)
	v_mul_lo_u32 v26, v13, 39
	v_and_b32_e32 v28, 63, v26
	v_lshl_add_u32 v26, v28, 2, v16
	ds_read_b32 v27, v26
	s_waitcnt lgkmcnt(0)
	v_cmp_ne_u32_e32 vcc, -1, v27
	s_and_saveexec_b64 s[30:31], vcc
	s_cbranch_execz .LBB7_21
; %bb.23:                               ;   in Loop: Header=BB7_22 Depth=2
	s_mov_b64 s[34:35], 0
                                        ; implicit-def: $sgpr36_sgpr37
                                        ; implicit-def: $sgpr40_sgpr41
                                        ; implicit-def: $sgpr38_sgpr39
	s_branch .LBB7_25
.LBB7_24:                               ;   in Loop: Header=BB7_25 Depth=3
	s_or_b64 exec, exec, s[42:43]
	s_and_b64 s[42:43], exec, s[40:41]
	s_or_b64 s[34:35], s[42:43], s[34:35]
	s_andn2_b64 s[36:37], s[36:37], exec
	s_and_b64 s[42:43], s[38:39], exec
	s_or_b64 s[36:37], s[36:37], s[42:43]
	s_andn2_b64 exec, exec, s[34:35]
	s_cbranch_execz .LBB7_27
.LBB7_25:                               ;   Parent Loop BB7_15 Depth=1
                                        ;     Parent Loop BB7_22 Depth=2
                                        ; =>    This Inner Loop Header: Depth=3
	v_mov_b32_e32 v26, v28
	v_cmp_ne_u32_e32 vcc, v27, v13
	s_or_b64 s[38:39], s[38:39], exec
	s_or_b64 s[40:41], s[40:41], exec
                                        ; implicit-def: $vgpr28
                                        ; implicit-def: $vgpr27
	s_and_saveexec_b64 s[42:43], vcc
	s_cbranch_execz .LBB7_24
; %bb.26:                               ;   in Loop: Header=BB7_25 Depth=3
	v_add_u32_e32 v27, 1, v26
	v_and_b32_e32 v28, 63, v27
	v_lshl_add_u32 v27, v28, 2, v16
	ds_read_b32 v27, v27
	s_andn2_b64 s[40:41], s[40:41], exec
	s_andn2_b64 s[38:39], s[38:39], exec
	s_waitcnt lgkmcnt(0)
	v_cmp_eq_u32_e32 vcc, -1, v27
	s_and_b64 s[44:45], vcc, exec
	s_or_b64 s[40:41], s[40:41], s[44:45]
	s_branch .LBB7_24
.LBB7_27:                               ;   in Loop: Header=BB7_22 Depth=2
	s_or_b64 exec, exec, s[34:35]
	s_and_saveexec_b64 s[34:35], s[36:37]
	s_xor_b64 s[34:35], exec, s[34:35]
	s_cbranch_execz .LBB7_20
; %bb.28:                               ;   in Loop: Header=BB7_22 Depth=2
	v_lshl_add_u32 v13, v26, 2, v3
	ds_read_b32 v26, v13
	v_add_co_u32_e32 v14, vcc, s20, v14
	v_addc_co_u32_e32 v15, vcc, v21, v15, vcc
	s_waitcnt lgkmcnt(0)
	v_ashrrev_i32_e32 v27, 31, v26
	v_lshlrev_b64 v[26:27], 2, v[26:27]
	v_add_co_u32_e32 v26, vcc, s20, v26
	v_addc_co_u32_e32 v27, vcc, v21, v27, vcc
	global_load_dword v13, v[14:15], off
	global_load_dword v28, v[26:27], off
	s_waitcnt vmcnt(0)
	v_fmac_f32_e32 v25, v13, v28
	s_branch .LBB7_20
.LBB7_29:                               ;   in Loop: Header=BB7_15 Depth=1
	s_or_b64 exec, exec, s[28:29]
.LBB7_30:                               ;   in Loop: Header=BB7_15 Depth=1
	s_or_b64 exec, exec, s[26:27]
	v_mov_b32_dpp v10, v25 row_shr:1 row_mask:0xf bank_mask:0xf
	v_add_f32_e32 v10, v25, v10
	s_nop 1
	v_mov_b32_dpp v12, v10 row_shr:2 row_mask:0xf bank_mask:0xf
	v_add_f32_e32 v10, v10, v12
	s_nop 1
	;; [unrolled: 3-line block ×4, first 2 shown]
	v_mov_b32_dpp v12, v10 row_bcast:15 row_mask:0xa bank_mask:0xf
	v_add_f32_e32 v10, v10, v12
	s_nop 1
	v_mov_b32_dpp v12, v10 row_bcast:31 row_mask:0xc bank_mask:0xf
	s_and_saveexec_b64 s[26:27], s[0:1]
	s_cbranch_execz .LBB7_13
; %bb.31:                               ;   in Loop: Header=BB7_15 Depth=1
	v_div_scale_f32 v13, s[28:29], v11, v11, 1.0
	v_rcp_f32_e32 v14, v13
	v_div_scale_f32 v15, vcc, 1.0, v11, 1.0
	v_add_f32_e32 v10, v10, v12
	v_fma_f32 v25, -v13, v14, 1.0
	v_fmac_f32_e32 v14, v25, v14
	v_mul_f32_e32 v25, v15, v14
	v_fma_f32 v26, -v13, v25, v15
	v_fmac_f32_e32 v25, v26, v14
	v_fma_f32 v13, -v13, v25, v15
	v_div_fmas_f32 v13, v13, v14, v25
	v_div_fixup_f32 v11, v13, v11, 1.0
	v_sub_f32_e32 v7, v7, v10
	v_mul_f32_e32 v7, v11, v7
	v_fmac_f32_e32 v17, v7, v7
	global_store_dword v[8:9], v7, off
	s_branch .LBB7_13
.LBB7_32:
	s_or_b64 exec, exec, s[10:11]
.LBB7_33:
	s_or_b64 exec, exec, s[6:7]
	v_cmp_eq_u32_e32 vcc, 63, v5
	v_cmp_lt_i32_e64 s[0:1], -1, v4
	s_and_b64 s[0:1], vcc, s[0:1]
	s_and_saveexec_b64 s[6:7], s[0:1]
	s_cbranch_execz .LBB7_44
; %bb.34:
	v_mov_b32_e32 v5, 0
	v_lshlrev_b64 v[4:5], 2, v[4:5]
	v_mov_b32_e32 v3, s21
	v_add_co_u32_e64 v4, s[0:1], s20, v4
	v_addc_co_u32_e64 v5, s[0:1], v3, v5, s[0:1]
	global_load_dword v3, v[4:5], off
	s_load_dwordx2 s[0:1], s[4:5], 0x48
	v_add_u32_e32 v2, s33, v2
	s_waitcnt lgkmcnt(0)
	v_mul_f64 v[6:7], s[0:1], s[0:1]
	s_waitcnt vmcnt(0)
	v_sub_f32_e32 v3, v3, v17
	v_cvt_f64_f32_e32 v[8:9], v3
	v_cmp_ge_f64_e64 s[0:1], v[6:7], v[8:9]
	s_and_saveexec_b64 s[2:3], s[0:1]
	s_cbranch_execz .LBB7_39
; %bb.35:
	s_mov_b64 s[0:1], exec
	s_brev_b32 s4, -2
.LBB7_36:                               ; =>This Inner Loop Header: Depth=1
	s_ff1_i32_b64 s5, s[0:1]
	v_readlane_b32 s16, v2, s5
	s_lshl_b64 s[10:11], 1, s5
	s_min_i32 s4, s4, s16
	s_andn2_b64 s[0:1], s[0:1], s[10:11]
	s_cmp_lg_u64 s[0:1], 0
	s_cbranch_scc1 .LBB7_36
; %bb.37:
	v_mbcnt_lo_u32_b32 v6, exec_lo, 0
	v_mbcnt_hi_u32_b32 v6, exec_hi, v6
	v_cmp_eq_u32_e64 s[0:1], 0, v6
	s_and_saveexec_b64 s[10:11], s[0:1]
	s_xor_b64 s[10:11], exec, s[10:11]
	s_cbranch_execz .LBB7_39
; %bb.38:
	v_mov_b32_e32 v6, 0
	v_mov_b32_e32 v7, s4
	global_atomic_smin v6, v7, s[14:15]
.LBB7_39:
	s_or_b64 exec, exec, s[2:3]
	v_cmp_gt_f32_e64 s[0:1], 0, v3
	v_cndmask_b32_e64 v3, v3, -v3, s[0:1]
	s_mov_b32 s0, 0xf800000
	v_mul_f32_e32 v6, 0x4f800000, v3
	v_cmp_gt_f32_e64 s[0:1], s0, v3
	v_cndmask_b32_e64 v3, v3, v6, s[0:1]
	v_sqrt_f32_e32 v6, v3
	v_add_u32_e32 v7, -1, v6
	v_fma_f32 v8, -v7, v6, v3
	v_cmp_ge_f32_e64 s[2:3], 0, v8
	v_add_u32_e32 v8, 1, v6
	v_cndmask_b32_e64 v7, v6, v7, s[2:3]
	v_fma_f32 v6, -v8, v6, v3
	v_cmp_lt_f32_e64 s[2:3], 0, v6
	v_cndmask_b32_e64 v6, v7, v8, s[2:3]
	v_mul_f32_e32 v7, 0x37800000, v6
	v_cndmask_b32_e64 v6, v6, v7, s[0:1]
	v_mov_b32_e32 v7, 0x260
	v_cmp_class_f32_e64 s[0:1], v3, v7
	v_cndmask_b32_e64 v3, v6, v3, s[0:1]
	v_cmp_eq_f32_e64 s[0:1], 0, v3
	global_store_dword v[4:5], v3, off
	s_and_b64 exec, exec, s[0:1]
	s_cbranch_execz .LBB7_44
; %bb.40:
	s_mov_b64 s[0:1], exec
	s_brev_b32 s2, -2
.LBB7_41:                               ; =>This Inner Loop Header: Depth=1
	s_ff1_i32_b64 s3, s[0:1]
	v_readlane_b32 s10, v2, s3
	s_lshl_b64 s[4:5], 1, s3
	s_min_i32 s2, s2, s10
	s_andn2_b64 s[0:1], s[0:1], s[4:5]
	s_cmp_lg_u64 s[0:1], 0
	s_cbranch_scc1 .LBB7_41
; %bb.42:
	v_mbcnt_lo_u32_b32 v2, exec_lo, 0
	v_mbcnt_hi_u32_b32 v2, exec_hi, v2
	v_cmp_eq_u32_e64 s[0:1], 0, v2
	s_and_saveexec_b64 s[4:5], s[0:1]
	s_xor_b64 s[4:5], exec, s[4:5]
	s_cbranch_execz .LBB7_44
; %bb.43:
	v_mov_b32_e32 v2, 0
	v_mov_b32_e32 v3, s2
	global_atomic_smin v2, v3, s[12:13]
.LBB7_44:
	s_or_b64 exec, exec, s[6:7]
	s_and_b64 exec, exec, vcc
	s_cbranch_execz .LBB7_46
; %bb.45:
	v_mov_b32_e32 v2, s9
	v_add_co_u32_e32 v0, vcc, s8, v0
	v_addc_co_u32_e32 v1, vcc, v2, v1, vcc
	v_mov_b32_e32 v2, 1
	s_waitcnt vmcnt(0)
	global_store_dword v[0:1], v2, off
.LBB7_46:
	s_endpgm
	.section	.rodata,"a",@progbits
	.p2align	6, 0x0
	.amdhsa_kernel _ZN9rocsparseL18csric0_hash_kernelILj256ELj64ELj1EfEEviPKiS2_PT2_S2_PiS2_S5_S5_d21rocsparse_index_base_
		.amdhsa_group_segment_fixed_size 2048
		.amdhsa_private_segment_fixed_size 0
		.amdhsa_kernarg_size 84
		.amdhsa_user_sgpr_count 6
		.amdhsa_user_sgpr_private_segment_buffer 1
		.amdhsa_user_sgpr_dispatch_ptr 0
		.amdhsa_user_sgpr_queue_ptr 0
		.amdhsa_user_sgpr_kernarg_segment_ptr 1
		.amdhsa_user_sgpr_dispatch_id 0
		.amdhsa_user_sgpr_flat_scratch_init 0
		.amdhsa_user_sgpr_kernarg_preload_length 0
		.amdhsa_user_sgpr_kernarg_preload_offset 0
		.amdhsa_user_sgpr_private_segment_size 0
		.amdhsa_uses_dynamic_stack 0
		.amdhsa_system_sgpr_private_segment_wavefront_offset 0
		.amdhsa_system_sgpr_workgroup_id_x 1
		.amdhsa_system_sgpr_workgroup_id_y 0
		.amdhsa_system_sgpr_workgroup_id_z 0
		.amdhsa_system_sgpr_workgroup_info 0
		.amdhsa_system_vgpr_workitem_id 0
		.amdhsa_next_free_vgpr 29
		.amdhsa_next_free_sgpr 46
		.amdhsa_accum_offset 32
		.amdhsa_reserve_vcc 1
		.amdhsa_reserve_flat_scratch 0
		.amdhsa_float_round_mode_32 0
		.amdhsa_float_round_mode_16_64 0
		.amdhsa_float_denorm_mode_32 3
		.amdhsa_float_denorm_mode_16_64 3
		.amdhsa_dx10_clamp 1
		.amdhsa_ieee_mode 1
		.amdhsa_fp16_overflow 0
		.amdhsa_tg_split 0
		.amdhsa_exception_fp_ieee_invalid_op 0
		.amdhsa_exception_fp_denorm_src 0
		.amdhsa_exception_fp_ieee_div_zero 0
		.amdhsa_exception_fp_ieee_overflow 0
		.amdhsa_exception_fp_ieee_underflow 0
		.amdhsa_exception_fp_ieee_inexact 0
		.amdhsa_exception_int_div_zero 0
	.end_amdhsa_kernel
	.section	.text._ZN9rocsparseL18csric0_hash_kernelILj256ELj64ELj1EfEEviPKiS2_PT2_S2_PiS2_S5_S5_d21rocsparse_index_base_,"axG",@progbits,_ZN9rocsparseL18csric0_hash_kernelILj256ELj64ELj1EfEEviPKiS2_PT2_S2_PiS2_S5_S5_d21rocsparse_index_base_,comdat
.Lfunc_end7:
	.size	_ZN9rocsparseL18csric0_hash_kernelILj256ELj64ELj1EfEEviPKiS2_PT2_S2_PiS2_S5_S5_d21rocsparse_index_base_, .Lfunc_end7-_ZN9rocsparseL18csric0_hash_kernelILj256ELj64ELj1EfEEviPKiS2_PT2_S2_PiS2_S5_S5_d21rocsparse_index_base_
                                        ; -- End function
	.section	.AMDGPU.csdata,"",@progbits
; Kernel info:
; codeLenInByte = 1900
; NumSgprs: 50
; NumVgprs: 29
; NumAgprs: 0
; TotalNumVgprs: 29
; ScratchSize: 0
; MemoryBound: 0
; FloatMode: 240
; IeeeMode: 1
; LDSByteSize: 2048 bytes/workgroup (compile time only)
; SGPRBlocks: 6
; VGPRBlocks: 3
; NumSGPRsForWavesPerEU: 50
; NumVGPRsForWavesPerEU: 29
; AccumOffset: 32
; Occupancy: 8
; WaveLimiterHint : 1
; COMPUTE_PGM_RSRC2:SCRATCH_EN: 0
; COMPUTE_PGM_RSRC2:USER_SGPR: 6
; COMPUTE_PGM_RSRC2:TRAP_HANDLER: 0
; COMPUTE_PGM_RSRC2:TGID_X_EN: 1
; COMPUTE_PGM_RSRC2:TGID_Y_EN: 0
; COMPUTE_PGM_RSRC2:TGID_Z_EN: 0
; COMPUTE_PGM_RSRC2:TIDIG_COMP_CNT: 0
; COMPUTE_PGM_RSRC3_GFX90A:ACCUM_OFFSET: 7
; COMPUTE_PGM_RSRC3_GFX90A:TG_SPLIT: 0
	.section	.text._ZN9rocsparseL18csric0_hash_kernelILj256ELj64ELj2EfEEviPKiS2_PT2_S2_PiS2_S5_S5_d21rocsparse_index_base_,"axG",@progbits,_ZN9rocsparseL18csric0_hash_kernelILj256ELj64ELj2EfEEviPKiS2_PT2_S2_PiS2_S5_S5_d21rocsparse_index_base_,comdat
	.globl	_ZN9rocsparseL18csric0_hash_kernelILj256ELj64ELj2EfEEviPKiS2_PT2_S2_PiS2_S5_S5_d21rocsparse_index_base_ ; -- Begin function _ZN9rocsparseL18csric0_hash_kernelILj256ELj64ELj2EfEEviPKiS2_PT2_S2_PiS2_S5_S5_d21rocsparse_index_base_
	.p2align	8
	.type	_ZN9rocsparseL18csric0_hash_kernelILj256ELj64ELj2EfEEviPKiS2_PT2_S2_PiS2_S5_S5_d21rocsparse_index_base_,@function
_ZN9rocsparseL18csric0_hash_kernelILj256ELj64ELj2EfEEviPKiS2_PT2_S2_PiS2_S5_S5_d21rocsparse_index_base_: ; @_ZN9rocsparseL18csric0_hash_kernelILj256ELj64ELj2EfEEviPKiS2_PT2_S2_PiS2_S5_S5_d21rocsparse_index_base_
; %bb.0:
	s_load_dword s0, s[4:5], 0x0
	v_lshlrev_b32_e32 v1, 1, v0
	s_lshl_b32 s1, s6, 2
	v_and_b32_e32 v5, 63, v0
	v_and_b32_e32 v6, 0x180, v1
	v_mov_b32_e32 v1, 0x800
	v_lshrrev_b32_e32 v0, 6, v0
	s_and_b32 s1, s1, 0x3fffffc
	v_lshl_or_b32 v16, v6, 2, v1
	v_or_b32_e32 v0, s1, v0
	v_lshl_or_b32 v1, v5, 2, v16
	v_mov_b32_e32 v2, -1
	s_waitcnt lgkmcnt(0)
	v_cmp_gt_i32_e32 vcc, s0, v0
	ds_write2st64_b32 v1, v2, v2 offset1:1
	s_waitcnt lgkmcnt(0)
	s_and_saveexec_b64 s[0:1], vcc
	s_cbranch_execz .LBB8_46
; %bb.1:
	s_load_dwordx8 s[8:15], s[4:5], 0x28
	v_lshlrev_b32_e32 v0, 2, v0
	s_load_dwordx8 s[16:23], s[4:5], 0x8
	s_load_dword s33, s[4:5], 0x50
	s_waitcnt lgkmcnt(0)
	global_load_dword v2, v0, s[10:11]
	v_mov_b32_e32 v7, s17
	v_mov_b32_e32 v4, s23
	s_waitcnt vmcnt(0)
	v_ashrrev_i32_e32 v3, 31, v2
	v_lshlrev_b64 v[0:1], 2, v[2:3]
	v_add_co_u32_e32 v8, vcc, s16, v0
	v_addc_co_u32_e32 v9, vcc, v7, v1, vcc
	global_load_dwordx2 v[8:9], v[8:9], off
	v_add_co_u32_e32 v10, vcc, s22, v0
	v_addc_co_u32_e32 v11, vcc, v4, v1, vcc
	global_load_dword v4, v[10:11], off
	v_lshlrev_b32_e32 v3, 2, v6
	s_waitcnt vmcnt(1)
	v_subrev_u32_e32 v6, s33, v8
	v_subrev_u32_e32 v7, s33, v9
	v_add_u32_e32 v8, v6, v5
	v_cmp_lt_i32_e32 vcc, v8, v7
	s_and_saveexec_b64 s[0:1], vcc
	s_cbranch_execz .LBB8_11
; %bb.2:
	s_mov_b64 s[2:3], 0
	v_mov_b32_e32 v10, s19
	s_movk_i32 s34, 0x67
	v_mov_b32_e32 v11, -1
	s_branch .LBB8_4
.LBB8_3:                                ;   in Loop: Header=BB8_4 Depth=1
	s_or_b64 exec, exec, s[6:7]
	v_add_u32_e32 v8, 64, v8
	v_cmp_ge_i32_e32 vcc, v8, v7
	s_or_b64 s[2:3], vcc, s[2:3]
	s_andn2_b64 exec, exec, s[2:3]
	s_cbranch_execz .LBB8_11
.LBB8_4:                                ; =>This Loop Header: Depth=1
                                        ;     Child Loop BB8_7 Depth 2
	v_ashrrev_i32_e32 v9, 31, v8
	v_lshlrev_b64 v[12:13], 2, v[8:9]
	v_add_co_u32_e32 v12, vcc, s18, v12
	v_addc_co_u32_e32 v13, vcc, v10, v13, vcc
	global_load_dword v9, v[12:13], off
	s_waitcnt vmcnt(0)
	v_mul_lo_u32 v12, v9, s34
	v_and_b32_e32 v12, 0x7f, v12
	v_lshl_add_u32 v13, v12, 2, v16
	ds_read_b32 v14, v13
	s_waitcnt lgkmcnt(0)
	v_cmp_ne_u32_e32 vcc, v14, v9
	s_and_saveexec_b64 s[6:7], vcc
	s_cbranch_execz .LBB8_3
; %bb.5:                                ;   in Loop: Header=BB8_4 Depth=1
	s_mov_b64 s[10:11], 0
                                        ; implicit-def: $sgpr24_sgpr25
                                        ; implicit-def: $sgpr28_sgpr29
                                        ; implicit-def: $sgpr26_sgpr27
	s_branch .LBB8_7
.LBB8_6:                                ;   in Loop: Header=BB8_7 Depth=2
	s_or_b64 exec, exec, s[30:31]
	s_and_b64 s[30:31], exec, s[28:29]
	s_or_b64 s[10:11], s[30:31], s[10:11]
	s_andn2_b64 s[24:25], s[24:25], exec
	s_and_b64 s[30:31], s[26:27], exec
	s_or_b64 s[24:25], s[24:25], s[30:31]
	s_andn2_b64 exec, exec, s[10:11]
	s_cbranch_execz .LBB8_9
.LBB8_7:                                ;   Parent Loop BB8_4 Depth=1
                                        ; =>  This Inner Loop Header: Depth=2
	ds_cmpst_rtn_b32 v13, v13, v11, v9
	v_mov_b32_e32 v14, v12
	s_or_b64 s[26:27], s[26:27], exec
	s_or_b64 s[28:29], s[28:29], exec
                                        ; implicit-def: $vgpr12
	s_waitcnt lgkmcnt(0)
	v_cmp_ne_u32_e32 vcc, -1, v13
                                        ; implicit-def: $vgpr13
	s_and_saveexec_b64 s[30:31], vcc
	s_cbranch_execz .LBB8_6
; %bb.8:                                ;   in Loop: Header=BB8_7 Depth=2
	v_add_u32_e32 v12, 1, v14
	v_and_b32_e32 v12, 0x7f, v12
	v_lshl_add_u32 v13, v12, 2, v16
	ds_read_b32 v15, v13
	s_andn2_b64 s[28:29], s[28:29], exec
	s_andn2_b64 s[26:27], s[26:27], exec
	s_waitcnt lgkmcnt(0)
	v_cmp_eq_u32_e32 vcc, v15, v9
	s_and_b64 s[36:37], vcc, exec
	s_or_b64 s[28:29], s[28:29], s[36:37]
	s_branch .LBB8_6
.LBB8_9:                                ;   in Loop: Header=BB8_4 Depth=1
	s_or_b64 exec, exec, s[10:11]
	s_and_saveexec_b64 s[10:11], s[24:25]
	s_xor_b64 s[10:11], exec, s[10:11]
	s_cbranch_execz .LBB8_3
; %bb.10:                               ;   in Loop: Header=BB8_4 Depth=1
	v_lshl_add_u32 v9, v14, 2, v3
	ds_write_b32 v9, v8
	s_branch .LBB8_3
.LBB8_11:
	s_or_b64 exec, exec, s[0:1]
	s_waitcnt vmcnt(0)
	v_cmp_lt_i32_e32 vcc, v6, v4
	v_mov_b32_e32 v17, 0
	s_waitcnt lgkmcnt(0)
	s_and_saveexec_b64 s[6:7], vcc
	s_cbranch_execz .LBB8_33
; %bb.12:
	v_add_u32_e32 v18, -1, v4
	v_subrev_u32_e32 v19, s33, v5
	v_cmp_eq_u32_e64 s[0:1], 63, v5
	s_mov_b64 s[10:11], 0
	v_mov_b32_e32 v17, 0
	v_mov_b32_e32 v20, s19
	;; [unrolled: 1-line block ×6, first 2 shown]
	s_movk_i32 s17, 0x67
	s_branch .LBB8_15
.LBB8_13:                               ;   in Loop: Header=BB8_15 Depth=1
	s_or_b64 exec, exec, s[26:27]
.LBB8_14:                               ;   in Loop: Header=BB8_15 Depth=1
	s_or_b64 exec, exec, s[24:25]
	v_add_u32_e32 v6, 1, v6
	v_cmp_ge_i32_e32 vcc, v6, v4
	s_xor_b64 s[2:3], s[2:3], -1
	s_or_b64 s[2:3], s[2:3], vcc
	s_and_b64 s[2:3], exec, s[2:3]
	s_or_b64 s[10:11], s[2:3], s[10:11]
	s_andn2_b64 exec, exec, s[10:11]
	s_cbranch_execz .LBB8_32
.LBB8_15:                               ; =>This Loop Header: Depth=1
                                        ;     Child Loop BB8_16 Depth 2
                                        ;     Child Loop BB8_22 Depth 2
                                        ;       Child Loop BB8_25 Depth 3
	v_ashrrev_i32_e32 v7, 31, v6
	v_lshlrev_b64 v[8:9], 2, v[6:7]
	v_add_co_u32_e32 v10, vcc, s18, v8
	v_addc_co_u32_e32 v11, vcc, v20, v9, vcc
	global_load_dword v10, v[10:11], off
	v_add_co_u32_e32 v8, vcc, s20, v8
	v_addc_co_u32_e32 v9, vcc, v21, v9, vcc
	global_load_dword v7, v[8:9], off
	s_mov_b64 s[2:3], 0
	s_waitcnt vmcnt(1)
	v_subrev_u32_e32 v10, s33, v10
	v_ashrrev_i32_e32 v11, 31, v10
	v_lshlrev_b64 v[10:11], 2, v[10:11]
	v_add_co_u32_e32 v14, vcc, s16, v10
	v_addc_co_u32_e32 v15, vcc, v22, v11, vcc
	v_add_co_u32_e32 v26, vcc, s22, v10
	v_addc_co_u32_e32 v27, vcc, v23, v11, vcc
	global_load_dword v12, v[14:15], off
	global_load_dword v13, v[26:27], off
	v_add_co_u32_e32 v10, vcc, s8, v10
	v_addc_co_u32_e32 v11, vcc, v24, v11, vcc
.LBB8_16:                               ;   Parent Loop BB8_15 Depth=1
                                        ; =>  This Inner Loop Header: Depth=2
	global_load_dword v14, v[10:11], off glc
	s_waitcnt vmcnt(0)
	v_cmp_ne_u32_e32 vcc, 0, v14
	s_or_b64 s[2:3], vcc, s[2:3]
	s_andn2_b64 exec, exec, s[2:3]
	s_cbranch_execnz .LBB8_16
; %bb.17:                               ;   in Loop: Header=BB8_15 Depth=1
	s_or_b64 exec, exec, s[2:3]
	v_cmp_eq_u32_e32 vcc, -1, v13
	v_cndmask_b32_e32 v10, v13, v18, vcc
	v_ashrrev_i32_e32 v11, 31, v10
	v_lshlrev_b64 v[14:15], 2, v[10:11]
	v_add_co_u32_e32 v14, vcc, s20, v14
	v_addc_co_u32_e32 v15, vcc, v21, v15, vcc
	buffer_wbinvl1_vol
	global_load_dword v11, v[14:15], off
	s_waitcnt vmcnt(0)
	v_cmp_neq_f32_e64 s[2:3], 0, v11
	s_and_saveexec_b64 s[24:25], s[2:3]
	s_cbranch_execz .LBB8_14
; %bb.18:                               ;   in Loop: Header=BB8_15 Depth=1
	v_add_u32_e32 v12, v19, v12
	v_cmp_lt_i32_e32 vcc, v12, v10
	v_mov_b32_e32 v25, 0
	s_and_saveexec_b64 s[26:27], vcc
	s_cbranch_execz .LBB8_30
; %bb.19:                               ;   in Loop: Header=BB8_15 Depth=1
	s_mov_b64 s[28:29], 0
	v_mov_b32_e32 v25, 0
	s_branch .LBB8_22
.LBB8_20:                               ;   in Loop: Header=BB8_22 Depth=2
	s_or_b64 exec, exec, s[34:35]
.LBB8_21:                               ;   in Loop: Header=BB8_22 Depth=2
	s_or_b64 exec, exec, s[30:31]
	v_add_u32_e32 v12, 64, v12
	v_cmp_ge_i32_e32 vcc, v12, v10
	s_or_b64 s[28:29], vcc, s[28:29]
	s_andn2_b64 exec, exec, s[28:29]
	s_cbranch_execz .LBB8_29
.LBB8_22:                               ;   Parent Loop BB8_15 Depth=1
                                        ; =>  This Loop Header: Depth=2
                                        ;       Child Loop BB8_25 Depth 3
	v_ashrrev_i32_e32 v13, 31, v12
	v_lshlrev_b64 v[14:15], 2, v[12:13]
	v_add_co_u32_e32 v26, vcc, s18, v14
	v_addc_co_u32_e32 v27, vcc, v20, v15, vcc
	global_load_dword v13, v[26:27], off
	s_waitcnt vmcnt(0)
	v_mul_lo_u32 v26, v13, s17
	v_and_b32_e32 v28, 0x7f, v26
	v_lshl_add_u32 v26, v28, 2, v16
	ds_read_b32 v27, v26
	s_waitcnt lgkmcnt(0)
	v_cmp_ne_u32_e32 vcc, -1, v27
	s_and_saveexec_b64 s[30:31], vcc
	s_cbranch_execz .LBB8_21
; %bb.23:                               ;   in Loop: Header=BB8_22 Depth=2
	s_mov_b64 s[34:35], 0
                                        ; implicit-def: $sgpr36_sgpr37
                                        ; implicit-def: $sgpr40_sgpr41
                                        ; implicit-def: $sgpr38_sgpr39
	s_branch .LBB8_25
.LBB8_24:                               ;   in Loop: Header=BB8_25 Depth=3
	s_or_b64 exec, exec, s[42:43]
	s_and_b64 s[42:43], exec, s[40:41]
	s_or_b64 s[34:35], s[42:43], s[34:35]
	s_andn2_b64 s[36:37], s[36:37], exec
	s_and_b64 s[42:43], s[38:39], exec
	s_or_b64 s[36:37], s[36:37], s[42:43]
	s_andn2_b64 exec, exec, s[34:35]
	s_cbranch_execz .LBB8_27
.LBB8_25:                               ;   Parent Loop BB8_15 Depth=1
                                        ;     Parent Loop BB8_22 Depth=2
                                        ; =>    This Inner Loop Header: Depth=3
	v_mov_b32_e32 v26, v28
	v_cmp_ne_u32_e32 vcc, v27, v13
	s_or_b64 s[38:39], s[38:39], exec
	s_or_b64 s[40:41], s[40:41], exec
                                        ; implicit-def: $vgpr28
                                        ; implicit-def: $vgpr27
	s_and_saveexec_b64 s[42:43], vcc
	s_cbranch_execz .LBB8_24
; %bb.26:                               ;   in Loop: Header=BB8_25 Depth=3
	v_add_u32_e32 v27, 1, v26
	v_and_b32_e32 v28, 0x7f, v27
	v_lshl_add_u32 v27, v28, 2, v16
	ds_read_b32 v27, v27
	s_andn2_b64 s[40:41], s[40:41], exec
	s_andn2_b64 s[38:39], s[38:39], exec
	s_waitcnt lgkmcnt(0)
	v_cmp_eq_u32_e32 vcc, -1, v27
	s_and_b64 s[44:45], vcc, exec
	s_or_b64 s[40:41], s[40:41], s[44:45]
	s_branch .LBB8_24
.LBB8_27:                               ;   in Loop: Header=BB8_22 Depth=2
	s_or_b64 exec, exec, s[34:35]
	s_and_saveexec_b64 s[34:35], s[36:37]
	s_xor_b64 s[34:35], exec, s[34:35]
	s_cbranch_execz .LBB8_20
; %bb.28:                               ;   in Loop: Header=BB8_22 Depth=2
	v_lshl_add_u32 v13, v26, 2, v3
	ds_read_b32 v26, v13
	v_add_co_u32_e32 v14, vcc, s20, v14
	v_addc_co_u32_e32 v15, vcc, v21, v15, vcc
	s_waitcnt lgkmcnt(0)
	v_ashrrev_i32_e32 v27, 31, v26
	v_lshlrev_b64 v[26:27], 2, v[26:27]
	v_add_co_u32_e32 v26, vcc, s20, v26
	v_addc_co_u32_e32 v27, vcc, v21, v27, vcc
	global_load_dword v13, v[14:15], off
	global_load_dword v28, v[26:27], off
	s_waitcnt vmcnt(0)
	v_fmac_f32_e32 v25, v13, v28
	s_branch .LBB8_20
.LBB8_29:                               ;   in Loop: Header=BB8_15 Depth=1
	s_or_b64 exec, exec, s[28:29]
.LBB8_30:                               ;   in Loop: Header=BB8_15 Depth=1
	s_or_b64 exec, exec, s[26:27]
	v_mov_b32_dpp v10, v25 row_shr:1 row_mask:0xf bank_mask:0xf
	v_add_f32_e32 v10, v25, v10
	s_nop 1
	v_mov_b32_dpp v12, v10 row_shr:2 row_mask:0xf bank_mask:0xf
	v_add_f32_e32 v10, v10, v12
	s_nop 1
	v_mov_b32_dpp v12, v10 row_shr:4 row_mask:0xf bank_mask:0xe
	v_add_f32_e32 v10, v10, v12
	s_nop 1
	v_mov_b32_dpp v12, v10 row_shr:8 row_mask:0xf bank_mask:0xc
	v_add_f32_e32 v10, v10, v12
	s_nop 1
	v_mov_b32_dpp v12, v10 row_bcast:15 row_mask:0xa bank_mask:0xf
	v_add_f32_e32 v10, v10, v12
	s_nop 1
	v_mov_b32_dpp v12, v10 row_bcast:31 row_mask:0xc bank_mask:0xf
	s_and_saveexec_b64 s[26:27], s[0:1]
	s_cbranch_execz .LBB8_13
; %bb.31:                               ;   in Loop: Header=BB8_15 Depth=1
	v_div_scale_f32 v13, s[28:29], v11, v11, 1.0
	v_rcp_f32_e32 v14, v13
	v_div_scale_f32 v15, vcc, 1.0, v11, 1.0
	v_add_f32_e32 v10, v10, v12
	v_fma_f32 v25, -v13, v14, 1.0
	v_fmac_f32_e32 v14, v25, v14
	v_mul_f32_e32 v25, v15, v14
	v_fma_f32 v26, -v13, v25, v15
	v_fmac_f32_e32 v25, v26, v14
	v_fma_f32 v13, -v13, v25, v15
	v_div_fmas_f32 v13, v13, v14, v25
	v_div_fixup_f32 v11, v13, v11, 1.0
	v_sub_f32_e32 v7, v7, v10
	v_mul_f32_e32 v7, v11, v7
	v_fmac_f32_e32 v17, v7, v7
	global_store_dword v[8:9], v7, off
	s_branch .LBB8_13
.LBB8_32:
	s_or_b64 exec, exec, s[10:11]
.LBB8_33:
	s_or_b64 exec, exec, s[6:7]
	v_cmp_eq_u32_e32 vcc, 63, v5
	v_cmp_lt_i32_e64 s[0:1], -1, v4
	s_and_b64 s[0:1], vcc, s[0:1]
	s_and_saveexec_b64 s[6:7], s[0:1]
	s_cbranch_execz .LBB8_44
; %bb.34:
	v_mov_b32_e32 v5, 0
	v_lshlrev_b64 v[4:5], 2, v[4:5]
	v_mov_b32_e32 v3, s21
	v_add_co_u32_e64 v4, s[0:1], s20, v4
	v_addc_co_u32_e64 v5, s[0:1], v3, v5, s[0:1]
	global_load_dword v3, v[4:5], off
	s_load_dwordx2 s[0:1], s[4:5], 0x48
	v_add_u32_e32 v2, s33, v2
	s_waitcnt lgkmcnt(0)
	v_mul_f64 v[6:7], s[0:1], s[0:1]
	s_waitcnt vmcnt(0)
	v_sub_f32_e32 v3, v3, v17
	v_cvt_f64_f32_e32 v[8:9], v3
	v_cmp_ge_f64_e64 s[0:1], v[6:7], v[8:9]
	s_and_saveexec_b64 s[2:3], s[0:1]
	s_cbranch_execz .LBB8_39
; %bb.35:
	s_mov_b64 s[0:1], exec
	s_brev_b32 s4, -2
.LBB8_36:                               ; =>This Inner Loop Header: Depth=1
	s_ff1_i32_b64 s5, s[0:1]
	v_readlane_b32 s16, v2, s5
	s_lshl_b64 s[10:11], 1, s5
	s_min_i32 s4, s4, s16
	s_andn2_b64 s[0:1], s[0:1], s[10:11]
	s_cmp_lg_u64 s[0:1], 0
	s_cbranch_scc1 .LBB8_36
; %bb.37:
	v_mbcnt_lo_u32_b32 v6, exec_lo, 0
	v_mbcnt_hi_u32_b32 v6, exec_hi, v6
	v_cmp_eq_u32_e64 s[0:1], 0, v6
	s_and_saveexec_b64 s[10:11], s[0:1]
	s_xor_b64 s[10:11], exec, s[10:11]
	s_cbranch_execz .LBB8_39
; %bb.38:
	v_mov_b32_e32 v6, 0
	v_mov_b32_e32 v7, s4
	global_atomic_smin v6, v7, s[14:15]
.LBB8_39:
	s_or_b64 exec, exec, s[2:3]
	v_cmp_gt_f32_e64 s[0:1], 0, v3
	v_cndmask_b32_e64 v3, v3, -v3, s[0:1]
	s_mov_b32 s0, 0xf800000
	v_mul_f32_e32 v6, 0x4f800000, v3
	v_cmp_gt_f32_e64 s[0:1], s0, v3
	v_cndmask_b32_e64 v3, v3, v6, s[0:1]
	v_sqrt_f32_e32 v6, v3
	v_add_u32_e32 v7, -1, v6
	v_fma_f32 v8, -v7, v6, v3
	v_cmp_ge_f32_e64 s[2:3], 0, v8
	v_add_u32_e32 v8, 1, v6
	v_cndmask_b32_e64 v7, v6, v7, s[2:3]
	v_fma_f32 v6, -v8, v6, v3
	v_cmp_lt_f32_e64 s[2:3], 0, v6
	v_cndmask_b32_e64 v6, v7, v8, s[2:3]
	v_mul_f32_e32 v7, 0x37800000, v6
	v_cndmask_b32_e64 v6, v6, v7, s[0:1]
	v_mov_b32_e32 v7, 0x260
	v_cmp_class_f32_e64 s[0:1], v3, v7
	v_cndmask_b32_e64 v3, v6, v3, s[0:1]
	v_cmp_eq_f32_e64 s[0:1], 0, v3
	global_store_dword v[4:5], v3, off
	s_and_b64 exec, exec, s[0:1]
	s_cbranch_execz .LBB8_44
; %bb.40:
	s_mov_b64 s[0:1], exec
	s_brev_b32 s2, -2
.LBB8_41:                               ; =>This Inner Loop Header: Depth=1
	s_ff1_i32_b64 s3, s[0:1]
	v_readlane_b32 s10, v2, s3
	s_lshl_b64 s[4:5], 1, s3
	s_min_i32 s2, s2, s10
	s_andn2_b64 s[0:1], s[0:1], s[4:5]
	s_cmp_lg_u64 s[0:1], 0
	s_cbranch_scc1 .LBB8_41
; %bb.42:
	v_mbcnt_lo_u32_b32 v2, exec_lo, 0
	v_mbcnt_hi_u32_b32 v2, exec_hi, v2
	v_cmp_eq_u32_e64 s[0:1], 0, v2
	s_and_saveexec_b64 s[4:5], s[0:1]
	s_xor_b64 s[4:5], exec, s[4:5]
	s_cbranch_execz .LBB8_44
; %bb.43:
	v_mov_b32_e32 v2, 0
	v_mov_b32_e32 v3, s2
	global_atomic_smin v2, v3, s[12:13]
.LBB8_44:
	s_or_b64 exec, exec, s[6:7]
	s_and_b64 exec, exec, vcc
	s_cbranch_execz .LBB8_46
; %bb.45:
	v_mov_b32_e32 v2, s9
	v_add_co_u32_e32 v0, vcc, s8, v0
	v_addc_co_u32_e32 v1, vcc, v2, v1, vcc
	v_mov_b32_e32 v2, 1
	s_waitcnt vmcnt(0)
	global_store_dword v[0:1], v2, off
.LBB8_46:
	s_endpgm
	.section	.rodata,"a",@progbits
	.p2align	6, 0x0
	.amdhsa_kernel _ZN9rocsparseL18csric0_hash_kernelILj256ELj64ELj2EfEEviPKiS2_PT2_S2_PiS2_S5_S5_d21rocsparse_index_base_
		.amdhsa_group_segment_fixed_size 4096
		.amdhsa_private_segment_fixed_size 0
		.amdhsa_kernarg_size 84
		.amdhsa_user_sgpr_count 6
		.amdhsa_user_sgpr_private_segment_buffer 1
		.amdhsa_user_sgpr_dispatch_ptr 0
		.amdhsa_user_sgpr_queue_ptr 0
		.amdhsa_user_sgpr_kernarg_segment_ptr 1
		.amdhsa_user_sgpr_dispatch_id 0
		.amdhsa_user_sgpr_flat_scratch_init 0
		.amdhsa_user_sgpr_kernarg_preload_length 0
		.amdhsa_user_sgpr_kernarg_preload_offset 0
		.amdhsa_user_sgpr_private_segment_size 0
		.amdhsa_uses_dynamic_stack 0
		.amdhsa_system_sgpr_private_segment_wavefront_offset 0
		.amdhsa_system_sgpr_workgroup_id_x 1
		.amdhsa_system_sgpr_workgroup_id_y 0
		.amdhsa_system_sgpr_workgroup_id_z 0
		.amdhsa_system_sgpr_workgroup_info 0
		.amdhsa_system_vgpr_workitem_id 0
		.amdhsa_next_free_vgpr 29
		.amdhsa_next_free_sgpr 46
		.amdhsa_accum_offset 32
		.amdhsa_reserve_vcc 1
		.amdhsa_reserve_flat_scratch 0
		.amdhsa_float_round_mode_32 0
		.amdhsa_float_round_mode_16_64 0
		.amdhsa_float_denorm_mode_32 3
		.amdhsa_float_denorm_mode_16_64 3
		.amdhsa_dx10_clamp 1
		.amdhsa_ieee_mode 1
		.amdhsa_fp16_overflow 0
		.amdhsa_tg_split 0
		.amdhsa_exception_fp_ieee_invalid_op 0
		.amdhsa_exception_fp_denorm_src 0
		.amdhsa_exception_fp_ieee_div_zero 0
		.amdhsa_exception_fp_ieee_overflow 0
		.amdhsa_exception_fp_ieee_underflow 0
		.amdhsa_exception_fp_ieee_inexact 0
		.amdhsa_exception_int_div_zero 0
	.end_amdhsa_kernel
	.section	.text._ZN9rocsparseL18csric0_hash_kernelILj256ELj64ELj2EfEEviPKiS2_PT2_S2_PiS2_S5_S5_d21rocsparse_index_base_,"axG",@progbits,_ZN9rocsparseL18csric0_hash_kernelILj256ELj64ELj2EfEEviPKiS2_PT2_S2_PiS2_S5_S5_d21rocsparse_index_base_,comdat
.Lfunc_end8:
	.size	_ZN9rocsparseL18csric0_hash_kernelILj256ELj64ELj2EfEEviPKiS2_PT2_S2_PiS2_S5_S5_d21rocsparse_index_base_, .Lfunc_end8-_ZN9rocsparseL18csric0_hash_kernelILj256ELj64ELj2EfEEviPKiS2_PT2_S2_PiS2_S5_S5_d21rocsparse_index_base_
                                        ; -- End function
	.section	.AMDGPU.csdata,"",@progbits
; Kernel info:
; codeLenInByte = 1928
; NumSgprs: 50
; NumVgprs: 29
; NumAgprs: 0
; TotalNumVgprs: 29
; ScratchSize: 0
; MemoryBound: 0
; FloatMode: 240
; IeeeMode: 1
; LDSByteSize: 4096 bytes/workgroup (compile time only)
; SGPRBlocks: 6
; VGPRBlocks: 3
; NumSGPRsForWavesPerEU: 50
; NumVGPRsForWavesPerEU: 29
; AccumOffset: 32
; Occupancy: 8
; WaveLimiterHint : 1
; COMPUTE_PGM_RSRC2:SCRATCH_EN: 0
; COMPUTE_PGM_RSRC2:USER_SGPR: 6
; COMPUTE_PGM_RSRC2:TRAP_HANDLER: 0
; COMPUTE_PGM_RSRC2:TGID_X_EN: 1
; COMPUTE_PGM_RSRC2:TGID_Y_EN: 0
; COMPUTE_PGM_RSRC2:TGID_Z_EN: 0
; COMPUTE_PGM_RSRC2:TIDIG_COMP_CNT: 0
; COMPUTE_PGM_RSRC3_GFX90A:ACCUM_OFFSET: 7
; COMPUTE_PGM_RSRC3_GFX90A:TG_SPLIT: 0
	.section	.text._ZN9rocsparseL18csric0_hash_kernelILj256ELj64ELj4EfEEviPKiS2_PT2_S2_PiS2_S5_S5_d21rocsparse_index_base_,"axG",@progbits,_ZN9rocsparseL18csric0_hash_kernelILj256ELj64ELj4EfEEviPKiS2_PT2_S2_PiS2_S5_S5_d21rocsparse_index_base_,comdat
	.globl	_ZN9rocsparseL18csric0_hash_kernelILj256ELj64ELj4EfEEviPKiS2_PT2_S2_PiS2_S5_S5_d21rocsparse_index_base_ ; -- Begin function _ZN9rocsparseL18csric0_hash_kernelILj256ELj64ELj4EfEEviPKiS2_PT2_S2_PiS2_S5_S5_d21rocsparse_index_base_
	.p2align	8
	.type	_ZN9rocsparseL18csric0_hash_kernelILj256ELj64ELj4EfEEviPKiS2_PT2_S2_PiS2_S5_S5_d21rocsparse_index_base_,@function
_ZN9rocsparseL18csric0_hash_kernelILj256ELj64ELj4EfEEviPKiS2_PT2_S2_PiS2_S5_S5_d21rocsparse_index_base_: ; @_ZN9rocsparseL18csric0_hash_kernelILj256ELj64ELj4EfEEviPKiS2_PT2_S2_PiS2_S5_S5_d21rocsparse_index_base_
; %bb.0:
	s_load_dword s0, s[4:5], 0x0
	v_lshlrev_b32_e32 v1, 2, v0
	s_lshl_b32 s1, s6, 2
	v_and_b32_e32 v5, 63, v0
	v_and_b32_e32 v6, 0x300, v1
	v_mov_b32_e32 v1, 0x1000
	v_lshrrev_b32_e32 v0, 6, v0
	s_and_b32 s1, s1, 0x3fffffc
	v_lshl_or_b32 v16, v6, 2, v1
	v_or_b32_e32 v0, s1, v0
	v_lshl_or_b32 v1, v5, 2, v16
	v_mov_b32_e32 v2, -1
	s_waitcnt lgkmcnt(0)
	v_cmp_gt_i32_e32 vcc, s0, v0
	ds_write2st64_b32 v1, v2, v2 offset1:1
	ds_write2st64_b32 v1, v2, v2 offset0:2 offset1:3
	s_waitcnt lgkmcnt(0)
	s_and_saveexec_b64 s[0:1], vcc
	s_cbranch_execz .LBB9_46
; %bb.1:
	s_load_dwordx8 s[8:15], s[4:5], 0x28
	v_lshlrev_b32_e32 v0, 2, v0
	s_load_dwordx8 s[16:23], s[4:5], 0x8
	s_load_dword s33, s[4:5], 0x50
	s_waitcnt lgkmcnt(0)
	global_load_dword v2, v0, s[10:11]
	v_mov_b32_e32 v7, s17
	v_mov_b32_e32 v4, s23
	s_waitcnt vmcnt(0)
	v_ashrrev_i32_e32 v3, 31, v2
	v_lshlrev_b64 v[0:1], 2, v[2:3]
	v_add_co_u32_e32 v8, vcc, s16, v0
	v_addc_co_u32_e32 v9, vcc, v7, v1, vcc
	global_load_dwordx2 v[8:9], v[8:9], off
	v_add_co_u32_e32 v10, vcc, s22, v0
	v_addc_co_u32_e32 v11, vcc, v4, v1, vcc
	global_load_dword v4, v[10:11], off
	v_lshlrev_b32_e32 v3, 2, v6
	s_waitcnt vmcnt(1)
	v_subrev_u32_e32 v6, s33, v8
	v_subrev_u32_e32 v7, s33, v9
	v_add_u32_e32 v8, v6, v5
	v_cmp_lt_i32_e32 vcc, v8, v7
	s_and_saveexec_b64 s[0:1], vcc
	s_cbranch_execz .LBB9_11
; %bb.2:
	s_mov_b64 s[2:3], 0
	v_mov_b32_e32 v10, s19
	s_movk_i32 s34, 0x67
	v_mov_b32_e32 v11, -1
	s_branch .LBB9_4
.LBB9_3:                                ;   in Loop: Header=BB9_4 Depth=1
	s_or_b64 exec, exec, s[6:7]
	v_add_u32_e32 v8, 64, v8
	v_cmp_ge_i32_e32 vcc, v8, v7
	s_or_b64 s[2:3], vcc, s[2:3]
	s_andn2_b64 exec, exec, s[2:3]
	s_cbranch_execz .LBB9_11
.LBB9_4:                                ; =>This Loop Header: Depth=1
                                        ;     Child Loop BB9_7 Depth 2
	v_ashrrev_i32_e32 v9, 31, v8
	v_lshlrev_b64 v[12:13], 2, v[8:9]
	v_add_co_u32_e32 v12, vcc, s18, v12
	v_addc_co_u32_e32 v13, vcc, v10, v13, vcc
	global_load_dword v9, v[12:13], off
	s_waitcnt vmcnt(0)
	v_mul_lo_u32 v12, v9, s34
	v_and_b32_e32 v12, 0xff, v12
	v_lshl_add_u32 v13, v12, 2, v16
	ds_read_b32 v14, v13
	s_waitcnt lgkmcnt(0)
	v_cmp_ne_u32_e32 vcc, v14, v9
	s_and_saveexec_b64 s[6:7], vcc
	s_cbranch_execz .LBB9_3
; %bb.5:                                ;   in Loop: Header=BB9_4 Depth=1
	s_mov_b64 s[10:11], 0
                                        ; implicit-def: $sgpr24_sgpr25
                                        ; implicit-def: $sgpr28_sgpr29
                                        ; implicit-def: $sgpr26_sgpr27
	s_branch .LBB9_7
.LBB9_6:                                ;   in Loop: Header=BB9_7 Depth=2
	s_or_b64 exec, exec, s[30:31]
	s_and_b64 s[30:31], exec, s[28:29]
	s_or_b64 s[10:11], s[30:31], s[10:11]
	s_andn2_b64 s[24:25], s[24:25], exec
	s_and_b64 s[30:31], s[26:27], exec
	s_or_b64 s[24:25], s[24:25], s[30:31]
	s_andn2_b64 exec, exec, s[10:11]
	s_cbranch_execz .LBB9_9
.LBB9_7:                                ;   Parent Loop BB9_4 Depth=1
                                        ; =>  This Inner Loop Header: Depth=2
	ds_cmpst_rtn_b32 v13, v13, v11, v9
	v_mov_b32_e32 v14, v12
	s_or_b64 s[26:27], s[26:27], exec
	s_or_b64 s[28:29], s[28:29], exec
                                        ; implicit-def: $vgpr12
	s_waitcnt lgkmcnt(0)
	v_cmp_ne_u32_e32 vcc, -1, v13
                                        ; implicit-def: $vgpr13
	s_and_saveexec_b64 s[30:31], vcc
	s_cbranch_execz .LBB9_6
; %bb.8:                                ;   in Loop: Header=BB9_7 Depth=2
	v_add_u32_e32 v12, 1, v14
	v_and_b32_e32 v12, 0xff, v12
	v_lshl_add_u32 v13, v12, 2, v16
	ds_read_b32 v15, v13
	s_andn2_b64 s[28:29], s[28:29], exec
	s_andn2_b64 s[26:27], s[26:27], exec
	s_waitcnt lgkmcnt(0)
	v_cmp_eq_u32_e32 vcc, v15, v9
	s_and_b64 s[36:37], vcc, exec
	s_or_b64 s[28:29], s[28:29], s[36:37]
	s_branch .LBB9_6
.LBB9_9:                                ;   in Loop: Header=BB9_4 Depth=1
	s_or_b64 exec, exec, s[10:11]
	s_and_saveexec_b64 s[10:11], s[24:25]
	s_xor_b64 s[10:11], exec, s[10:11]
	s_cbranch_execz .LBB9_3
; %bb.10:                               ;   in Loop: Header=BB9_4 Depth=1
	v_lshl_add_u32 v9, v14, 2, v3
	ds_write_b32 v9, v8
	s_branch .LBB9_3
.LBB9_11:
	s_or_b64 exec, exec, s[0:1]
	s_waitcnt vmcnt(0)
	v_cmp_lt_i32_e32 vcc, v6, v4
	v_mov_b32_e32 v17, 0
	s_waitcnt lgkmcnt(0)
	s_and_saveexec_b64 s[6:7], vcc
	s_cbranch_execz .LBB9_33
; %bb.12:
	v_add_u32_e32 v18, -1, v4
	v_subrev_u32_e32 v19, s33, v5
	v_cmp_eq_u32_e64 s[0:1], 63, v5
	s_mov_b64 s[10:11], 0
	v_mov_b32_e32 v17, 0
	v_mov_b32_e32 v20, s19
	;; [unrolled: 1-line block ×6, first 2 shown]
	s_movk_i32 s17, 0x67
	s_branch .LBB9_15
.LBB9_13:                               ;   in Loop: Header=BB9_15 Depth=1
	s_or_b64 exec, exec, s[26:27]
.LBB9_14:                               ;   in Loop: Header=BB9_15 Depth=1
	s_or_b64 exec, exec, s[24:25]
	v_add_u32_e32 v6, 1, v6
	v_cmp_ge_i32_e32 vcc, v6, v4
	s_xor_b64 s[2:3], s[2:3], -1
	s_or_b64 s[2:3], s[2:3], vcc
	s_and_b64 s[2:3], exec, s[2:3]
	s_or_b64 s[10:11], s[2:3], s[10:11]
	s_andn2_b64 exec, exec, s[10:11]
	s_cbranch_execz .LBB9_32
.LBB9_15:                               ; =>This Loop Header: Depth=1
                                        ;     Child Loop BB9_16 Depth 2
                                        ;     Child Loop BB9_22 Depth 2
                                        ;       Child Loop BB9_25 Depth 3
	v_ashrrev_i32_e32 v7, 31, v6
	v_lshlrev_b64 v[8:9], 2, v[6:7]
	v_add_co_u32_e32 v10, vcc, s18, v8
	v_addc_co_u32_e32 v11, vcc, v20, v9, vcc
	global_load_dword v10, v[10:11], off
	v_add_co_u32_e32 v8, vcc, s20, v8
	v_addc_co_u32_e32 v9, vcc, v21, v9, vcc
	global_load_dword v7, v[8:9], off
	s_mov_b64 s[2:3], 0
	s_waitcnt vmcnt(1)
	v_subrev_u32_e32 v10, s33, v10
	v_ashrrev_i32_e32 v11, 31, v10
	v_lshlrev_b64 v[10:11], 2, v[10:11]
	v_add_co_u32_e32 v14, vcc, s16, v10
	v_addc_co_u32_e32 v15, vcc, v22, v11, vcc
	v_add_co_u32_e32 v26, vcc, s22, v10
	v_addc_co_u32_e32 v27, vcc, v23, v11, vcc
	global_load_dword v12, v[14:15], off
	global_load_dword v13, v[26:27], off
	v_add_co_u32_e32 v10, vcc, s8, v10
	v_addc_co_u32_e32 v11, vcc, v24, v11, vcc
.LBB9_16:                               ;   Parent Loop BB9_15 Depth=1
                                        ; =>  This Inner Loop Header: Depth=2
	global_load_dword v14, v[10:11], off glc
	s_waitcnt vmcnt(0)
	v_cmp_ne_u32_e32 vcc, 0, v14
	s_or_b64 s[2:3], vcc, s[2:3]
	s_andn2_b64 exec, exec, s[2:3]
	s_cbranch_execnz .LBB9_16
; %bb.17:                               ;   in Loop: Header=BB9_15 Depth=1
	s_or_b64 exec, exec, s[2:3]
	v_cmp_eq_u32_e32 vcc, -1, v13
	v_cndmask_b32_e32 v10, v13, v18, vcc
	v_ashrrev_i32_e32 v11, 31, v10
	v_lshlrev_b64 v[14:15], 2, v[10:11]
	v_add_co_u32_e32 v14, vcc, s20, v14
	v_addc_co_u32_e32 v15, vcc, v21, v15, vcc
	buffer_wbinvl1_vol
	global_load_dword v11, v[14:15], off
	s_waitcnt vmcnt(0)
	v_cmp_neq_f32_e64 s[2:3], 0, v11
	s_and_saveexec_b64 s[24:25], s[2:3]
	s_cbranch_execz .LBB9_14
; %bb.18:                               ;   in Loop: Header=BB9_15 Depth=1
	v_add_u32_e32 v12, v19, v12
	v_cmp_lt_i32_e32 vcc, v12, v10
	v_mov_b32_e32 v25, 0
	s_and_saveexec_b64 s[26:27], vcc
	s_cbranch_execz .LBB9_30
; %bb.19:                               ;   in Loop: Header=BB9_15 Depth=1
	s_mov_b64 s[28:29], 0
	v_mov_b32_e32 v25, 0
	s_branch .LBB9_22
.LBB9_20:                               ;   in Loop: Header=BB9_22 Depth=2
	s_or_b64 exec, exec, s[34:35]
.LBB9_21:                               ;   in Loop: Header=BB9_22 Depth=2
	s_or_b64 exec, exec, s[30:31]
	v_add_u32_e32 v12, 64, v12
	v_cmp_ge_i32_e32 vcc, v12, v10
	s_or_b64 s[28:29], vcc, s[28:29]
	s_andn2_b64 exec, exec, s[28:29]
	s_cbranch_execz .LBB9_29
.LBB9_22:                               ;   Parent Loop BB9_15 Depth=1
                                        ; =>  This Loop Header: Depth=2
                                        ;       Child Loop BB9_25 Depth 3
	v_ashrrev_i32_e32 v13, 31, v12
	v_lshlrev_b64 v[14:15], 2, v[12:13]
	v_add_co_u32_e32 v26, vcc, s18, v14
	v_addc_co_u32_e32 v27, vcc, v20, v15, vcc
	global_load_dword v13, v[26:27], off
	s_waitcnt vmcnt(0)
	v_mul_lo_u32 v26, v13, s17
	v_and_b32_e32 v28, 0xff, v26
	v_lshl_add_u32 v26, v28, 2, v16
	ds_read_b32 v27, v26
	s_waitcnt lgkmcnt(0)
	v_cmp_ne_u32_e32 vcc, -1, v27
	s_and_saveexec_b64 s[30:31], vcc
	s_cbranch_execz .LBB9_21
; %bb.23:                               ;   in Loop: Header=BB9_22 Depth=2
	s_mov_b64 s[34:35], 0
                                        ; implicit-def: $sgpr36_sgpr37
                                        ; implicit-def: $sgpr40_sgpr41
                                        ; implicit-def: $sgpr38_sgpr39
	s_branch .LBB9_25
.LBB9_24:                               ;   in Loop: Header=BB9_25 Depth=3
	s_or_b64 exec, exec, s[42:43]
	s_and_b64 s[42:43], exec, s[40:41]
	s_or_b64 s[34:35], s[42:43], s[34:35]
	s_andn2_b64 s[36:37], s[36:37], exec
	s_and_b64 s[42:43], s[38:39], exec
	s_or_b64 s[36:37], s[36:37], s[42:43]
	s_andn2_b64 exec, exec, s[34:35]
	s_cbranch_execz .LBB9_27
.LBB9_25:                               ;   Parent Loop BB9_15 Depth=1
                                        ;     Parent Loop BB9_22 Depth=2
                                        ; =>    This Inner Loop Header: Depth=3
	v_mov_b32_e32 v26, v28
	v_cmp_ne_u32_e32 vcc, v27, v13
	s_or_b64 s[38:39], s[38:39], exec
	s_or_b64 s[40:41], s[40:41], exec
                                        ; implicit-def: $vgpr28
                                        ; implicit-def: $vgpr27
	s_and_saveexec_b64 s[42:43], vcc
	s_cbranch_execz .LBB9_24
; %bb.26:                               ;   in Loop: Header=BB9_25 Depth=3
	v_add_u32_e32 v27, 1, v26
	v_and_b32_e32 v28, 0xff, v27
	v_lshl_add_u32 v27, v28, 2, v16
	ds_read_b32 v27, v27
	s_andn2_b64 s[40:41], s[40:41], exec
	s_andn2_b64 s[38:39], s[38:39], exec
	s_waitcnt lgkmcnt(0)
	v_cmp_eq_u32_e32 vcc, -1, v27
	s_and_b64 s[44:45], vcc, exec
	s_or_b64 s[40:41], s[40:41], s[44:45]
	s_branch .LBB9_24
.LBB9_27:                               ;   in Loop: Header=BB9_22 Depth=2
	s_or_b64 exec, exec, s[34:35]
	s_and_saveexec_b64 s[34:35], s[36:37]
	s_xor_b64 s[34:35], exec, s[34:35]
	s_cbranch_execz .LBB9_20
; %bb.28:                               ;   in Loop: Header=BB9_22 Depth=2
	v_lshl_add_u32 v13, v26, 2, v3
	ds_read_b32 v26, v13
	v_add_co_u32_e32 v14, vcc, s20, v14
	v_addc_co_u32_e32 v15, vcc, v21, v15, vcc
	s_waitcnt lgkmcnt(0)
	v_ashrrev_i32_e32 v27, 31, v26
	v_lshlrev_b64 v[26:27], 2, v[26:27]
	v_add_co_u32_e32 v26, vcc, s20, v26
	v_addc_co_u32_e32 v27, vcc, v21, v27, vcc
	global_load_dword v13, v[14:15], off
	global_load_dword v28, v[26:27], off
	s_waitcnt vmcnt(0)
	v_fmac_f32_e32 v25, v13, v28
	s_branch .LBB9_20
.LBB9_29:                               ;   in Loop: Header=BB9_15 Depth=1
	s_or_b64 exec, exec, s[28:29]
.LBB9_30:                               ;   in Loop: Header=BB9_15 Depth=1
	s_or_b64 exec, exec, s[26:27]
	v_mov_b32_dpp v10, v25 row_shr:1 row_mask:0xf bank_mask:0xf
	v_add_f32_e32 v10, v25, v10
	s_nop 1
	v_mov_b32_dpp v12, v10 row_shr:2 row_mask:0xf bank_mask:0xf
	v_add_f32_e32 v10, v10, v12
	s_nop 1
	;; [unrolled: 3-line block ×4, first 2 shown]
	v_mov_b32_dpp v12, v10 row_bcast:15 row_mask:0xa bank_mask:0xf
	v_add_f32_e32 v10, v10, v12
	s_nop 1
	v_mov_b32_dpp v12, v10 row_bcast:31 row_mask:0xc bank_mask:0xf
	s_and_saveexec_b64 s[26:27], s[0:1]
	s_cbranch_execz .LBB9_13
; %bb.31:                               ;   in Loop: Header=BB9_15 Depth=1
	v_div_scale_f32 v13, s[28:29], v11, v11, 1.0
	v_rcp_f32_e32 v14, v13
	v_div_scale_f32 v15, vcc, 1.0, v11, 1.0
	v_add_f32_e32 v10, v10, v12
	v_fma_f32 v25, -v13, v14, 1.0
	v_fmac_f32_e32 v14, v25, v14
	v_mul_f32_e32 v25, v15, v14
	v_fma_f32 v26, -v13, v25, v15
	v_fmac_f32_e32 v25, v26, v14
	v_fma_f32 v13, -v13, v25, v15
	v_div_fmas_f32 v13, v13, v14, v25
	v_div_fixup_f32 v11, v13, v11, 1.0
	v_sub_f32_e32 v7, v7, v10
	v_mul_f32_e32 v7, v11, v7
	v_fmac_f32_e32 v17, v7, v7
	global_store_dword v[8:9], v7, off
	s_branch .LBB9_13
.LBB9_32:
	s_or_b64 exec, exec, s[10:11]
.LBB9_33:
	s_or_b64 exec, exec, s[6:7]
	v_cmp_eq_u32_e32 vcc, 63, v5
	v_cmp_lt_i32_e64 s[0:1], -1, v4
	s_and_b64 s[0:1], vcc, s[0:1]
	s_and_saveexec_b64 s[6:7], s[0:1]
	s_cbranch_execz .LBB9_44
; %bb.34:
	v_mov_b32_e32 v5, 0
	v_lshlrev_b64 v[4:5], 2, v[4:5]
	v_mov_b32_e32 v3, s21
	v_add_co_u32_e64 v4, s[0:1], s20, v4
	v_addc_co_u32_e64 v5, s[0:1], v3, v5, s[0:1]
	global_load_dword v3, v[4:5], off
	s_load_dwordx2 s[0:1], s[4:5], 0x48
	v_add_u32_e32 v2, s33, v2
	s_waitcnt lgkmcnt(0)
	v_mul_f64 v[6:7], s[0:1], s[0:1]
	s_waitcnt vmcnt(0)
	v_sub_f32_e32 v3, v3, v17
	v_cvt_f64_f32_e32 v[8:9], v3
	v_cmp_ge_f64_e64 s[0:1], v[6:7], v[8:9]
	s_and_saveexec_b64 s[2:3], s[0:1]
	s_cbranch_execz .LBB9_39
; %bb.35:
	s_mov_b64 s[0:1], exec
	s_brev_b32 s4, -2
.LBB9_36:                               ; =>This Inner Loop Header: Depth=1
	s_ff1_i32_b64 s5, s[0:1]
	v_readlane_b32 s16, v2, s5
	s_lshl_b64 s[10:11], 1, s5
	s_min_i32 s4, s4, s16
	s_andn2_b64 s[0:1], s[0:1], s[10:11]
	s_cmp_lg_u64 s[0:1], 0
	s_cbranch_scc1 .LBB9_36
; %bb.37:
	v_mbcnt_lo_u32_b32 v6, exec_lo, 0
	v_mbcnt_hi_u32_b32 v6, exec_hi, v6
	v_cmp_eq_u32_e64 s[0:1], 0, v6
	s_and_saveexec_b64 s[10:11], s[0:1]
	s_xor_b64 s[10:11], exec, s[10:11]
	s_cbranch_execz .LBB9_39
; %bb.38:
	v_mov_b32_e32 v6, 0
	v_mov_b32_e32 v7, s4
	global_atomic_smin v6, v7, s[14:15]
.LBB9_39:
	s_or_b64 exec, exec, s[2:3]
	v_cmp_gt_f32_e64 s[0:1], 0, v3
	v_cndmask_b32_e64 v3, v3, -v3, s[0:1]
	s_mov_b32 s0, 0xf800000
	v_mul_f32_e32 v6, 0x4f800000, v3
	v_cmp_gt_f32_e64 s[0:1], s0, v3
	v_cndmask_b32_e64 v3, v3, v6, s[0:1]
	v_sqrt_f32_e32 v6, v3
	v_add_u32_e32 v7, -1, v6
	v_fma_f32 v8, -v7, v6, v3
	v_cmp_ge_f32_e64 s[2:3], 0, v8
	v_add_u32_e32 v8, 1, v6
	v_cndmask_b32_e64 v7, v6, v7, s[2:3]
	v_fma_f32 v6, -v8, v6, v3
	v_cmp_lt_f32_e64 s[2:3], 0, v6
	v_cndmask_b32_e64 v6, v7, v8, s[2:3]
	v_mul_f32_e32 v7, 0x37800000, v6
	v_cndmask_b32_e64 v6, v6, v7, s[0:1]
	v_mov_b32_e32 v7, 0x260
	v_cmp_class_f32_e64 s[0:1], v3, v7
	v_cndmask_b32_e64 v3, v6, v3, s[0:1]
	v_cmp_eq_f32_e64 s[0:1], 0, v3
	global_store_dword v[4:5], v3, off
	s_and_b64 exec, exec, s[0:1]
	s_cbranch_execz .LBB9_44
; %bb.40:
	s_mov_b64 s[0:1], exec
	s_brev_b32 s2, -2
.LBB9_41:                               ; =>This Inner Loop Header: Depth=1
	s_ff1_i32_b64 s3, s[0:1]
	v_readlane_b32 s10, v2, s3
	s_lshl_b64 s[4:5], 1, s3
	s_min_i32 s2, s2, s10
	s_andn2_b64 s[0:1], s[0:1], s[4:5]
	s_cmp_lg_u64 s[0:1], 0
	s_cbranch_scc1 .LBB9_41
; %bb.42:
	v_mbcnt_lo_u32_b32 v2, exec_lo, 0
	v_mbcnt_hi_u32_b32 v2, exec_hi, v2
	v_cmp_eq_u32_e64 s[0:1], 0, v2
	s_and_saveexec_b64 s[4:5], s[0:1]
	s_xor_b64 s[4:5], exec, s[4:5]
	s_cbranch_execz .LBB9_44
; %bb.43:
	v_mov_b32_e32 v2, 0
	v_mov_b32_e32 v3, s2
	global_atomic_smin v2, v3, s[12:13]
.LBB9_44:
	s_or_b64 exec, exec, s[6:7]
	s_and_b64 exec, exec, vcc
	s_cbranch_execz .LBB9_46
; %bb.45:
	v_mov_b32_e32 v2, s9
	v_add_co_u32_e32 v0, vcc, s8, v0
	v_addc_co_u32_e32 v1, vcc, v2, v1, vcc
	v_mov_b32_e32 v2, 1
	s_waitcnt vmcnt(0)
	global_store_dword v[0:1], v2, off
.LBB9_46:
	s_endpgm
	.section	.rodata,"a",@progbits
	.p2align	6, 0x0
	.amdhsa_kernel _ZN9rocsparseL18csric0_hash_kernelILj256ELj64ELj4EfEEviPKiS2_PT2_S2_PiS2_S5_S5_d21rocsparse_index_base_
		.amdhsa_group_segment_fixed_size 8192
		.amdhsa_private_segment_fixed_size 0
		.amdhsa_kernarg_size 84
		.amdhsa_user_sgpr_count 6
		.amdhsa_user_sgpr_private_segment_buffer 1
		.amdhsa_user_sgpr_dispatch_ptr 0
		.amdhsa_user_sgpr_queue_ptr 0
		.amdhsa_user_sgpr_kernarg_segment_ptr 1
		.amdhsa_user_sgpr_dispatch_id 0
		.amdhsa_user_sgpr_flat_scratch_init 0
		.amdhsa_user_sgpr_kernarg_preload_length 0
		.amdhsa_user_sgpr_kernarg_preload_offset 0
		.amdhsa_user_sgpr_private_segment_size 0
		.amdhsa_uses_dynamic_stack 0
		.amdhsa_system_sgpr_private_segment_wavefront_offset 0
		.amdhsa_system_sgpr_workgroup_id_x 1
		.amdhsa_system_sgpr_workgroup_id_y 0
		.amdhsa_system_sgpr_workgroup_id_z 0
		.amdhsa_system_sgpr_workgroup_info 0
		.amdhsa_system_vgpr_workitem_id 0
		.amdhsa_next_free_vgpr 29
		.amdhsa_next_free_sgpr 46
		.amdhsa_accum_offset 32
		.amdhsa_reserve_vcc 1
		.amdhsa_reserve_flat_scratch 0
		.amdhsa_float_round_mode_32 0
		.amdhsa_float_round_mode_16_64 0
		.amdhsa_float_denorm_mode_32 3
		.amdhsa_float_denorm_mode_16_64 3
		.amdhsa_dx10_clamp 1
		.amdhsa_ieee_mode 1
		.amdhsa_fp16_overflow 0
		.amdhsa_tg_split 0
		.amdhsa_exception_fp_ieee_invalid_op 0
		.amdhsa_exception_fp_denorm_src 0
		.amdhsa_exception_fp_ieee_div_zero 0
		.amdhsa_exception_fp_ieee_overflow 0
		.amdhsa_exception_fp_ieee_underflow 0
		.amdhsa_exception_fp_ieee_inexact 0
		.amdhsa_exception_int_div_zero 0
	.end_amdhsa_kernel
	.section	.text._ZN9rocsparseL18csric0_hash_kernelILj256ELj64ELj4EfEEviPKiS2_PT2_S2_PiS2_S5_S5_d21rocsparse_index_base_,"axG",@progbits,_ZN9rocsparseL18csric0_hash_kernelILj256ELj64ELj4EfEEviPKiS2_PT2_S2_PiS2_S5_S5_d21rocsparse_index_base_,comdat
.Lfunc_end9:
	.size	_ZN9rocsparseL18csric0_hash_kernelILj256ELj64ELj4EfEEviPKiS2_PT2_S2_PiS2_S5_S5_d21rocsparse_index_base_, .Lfunc_end9-_ZN9rocsparseL18csric0_hash_kernelILj256ELj64ELj4EfEEviPKiS2_PT2_S2_PiS2_S5_S5_d21rocsparse_index_base_
                                        ; -- End function
	.section	.AMDGPU.csdata,"",@progbits
; Kernel info:
; codeLenInByte = 1936
; NumSgprs: 50
; NumVgprs: 29
; NumAgprs: 0
; TotalNumVgprs: 29
; ScratchSize: 0
; MemoryBound: 0
; FloatMode: 240
; IeeeMode: 1
; LDSByteSize: 8192 bytes/workgroup (compile time only)
; SGPRBlocks: 6
; VGPRBlocks: 3
; NumSGPRsForWavesPerEU: 50
; NumVGPRsForWavesPerEU: 29
; AccumOffset: 32
; Occupancy: 8
; WaveLimiterHint : 1
; COMPUTE_PGM_RSRC2:SCRATCH_EN: 0
; COMPUTE_PGM_RSRC2:USER_SGPR: 6
; COMPUTE_PGM_RSRC2:TRAP_HANDLER: 0
; COMPUTE_PGM_RSRC2:TGID_X_EN: 1
; COMPUTE_PGM_RSRC2:TGID_Y_EN: 0
; COMPUTE_PGM_RSRC2:TGID_Z_EN: 0
; COMPUTE_PGM_RSRC2:TIDIG_COMP_CNT: 0
; COMPUTE_PGM_RSRC3_GFX90A:ACCUM_OFFSET: 7
; COMPUTE_PGM_RSRC3_GFX90A:TG_SPLIT: 0
	.section	.text._ZN9rocsparseL18csric0_hash_kernelILj256ELj64ELj8EfEEviPKiS2_PT2_S2_PiS2_S5_S5_d21rocsparse_index_base_,"axG",@progbits,_ZN9rocsparseL18csric0_hash_kernelILj256ELj64ELj8EfEEviPKiS2_PT2_S2_PiS2_S5_S5_d21rocsparse_index_base_,comdat
	.globl	_ZN9rocsparseL18csric0_hash_kernelILj256ELj64ELj8EfEEviPKiS2_PT2_S2_PiS2_S5_S5_d21rocsparse_index_base_ ; -- Begin function _ZN9rocsparseL18csric0_hash_kernelILj256ELj64ELj8EfEEviPKiS2_PT2_S2_PiS2_S5_S5_d21rocsparse_index_base_
	.p2align	8
	.type	_ZN9rocsparseL18csric0_hash_kernelILj256ELj64ELj8EfEEviPKiS2_PT2_S2_PiS2_S5_S5_d21rocsparse_index_base_,@function
_ZN9rocsparseL18csric0_hash_kernelILj256ELj64ELj8EfEEviPKiS2_PT2_S2_PiS2_S5_S5_d21rocsparse_index_base_: ; @_ZN9rocsparseL18csric0_hash_kernelILj256ELj64ELj8EfEEviPKiS2_PT2_S2_PiS2_S5_S5_d21rocsparse_index_base_
; %bb.0:
	s_load_dword s0, s[4:5], 0x0
	v_lshlrev_b32_e32 v1, 3, v0
	s_lshl_b32 s1, s6, 2
	v_and_b32_e32 v5, 63, v0
	v_and_b32_e32 v6, 0x600, v1
	v_mov_b32_e32 v1, 0x2000
	v_lshrrev_b32_e32 v0, 6, v0
	s_and_b32 s1, s1, 0x3fffffc
	v_lshl_or_b32 v16, v6, 2, v1
	v_or_b32_e32 v0, s1, v0
	v_lshl_or_b32 v1, v5, 2, v16
	v_mov_b32_e32 v2, -1
	s_waitcnt lgkmcnt(0)
	v_cmp_gt_i32_e32 vcc, s0, v0
	ds_write2st64_b32 v1, v2, v2 offset1:1
	ds_write2st64_b32 v1, v2, v2 offset0:2 offset1:3
	ds_write2st64_b32 v1, v2, v2 offset0:4 offset1:5
	;; [unrolled: 1-line block ×3, first 2 shown]
	s_waitcnt lgkmcnt(0)
	s_and_saveexec_b64 s[0:1], vcc
	s_cbranch_execz .LBB10_46
; %bb.1:
	s_load_dwordx8 s[8:15], s[4:5], 0x28
	v_lshlrev_b32_e32 v0, 2, v0
	s_load_dwordx8 s[16:23], s[4:5], 0x8
	s_load_dword s33, s[4:5], 0x50
	s_waitcnt lgkmcnt(0)
	global_load_dword v2, v0, s[10:11]
	v_mov_b32_e32 v7, s17
	v_mov_b32_e32 v4, s23
	s_waitcnt vmcnt(0)
	v_ashrrev_i32_e32 v3, 31, v2
	v_lshlrev_b64 v[0:1], 2, v[2:3]
	v_add_co_u32_e32 v8, vcc, s16, v0
	v_addc_co_u32_e32 v9, vcc, v7, v1, vcc
	global_load_dwordx2 v[8:9], v[8:9], off
	v_add_co_u32_e32 v10, vcc, s22, v0
	v_addc_co_u32_e32 v11, vcc, v4, v1, vcc
	global_load_dword v4, v[10:11], off
	v_lshlrev_b32_e32 v3, 2, v6
	s_waitcnt vmcnt(1)
	v_subrev_u32_e32 v6, s33, v8
	v_subrev_u32_e32 v7, s33, v9
	v_add_u32_e32 v8, v6, v5
	v_cmp_lt_i32_e32 vcc, v8, v7
	s_and_saveexec_b64 s[0:1], vcc
	s_cbranch_execz .LBB10_11
; %bb.2:
	s_mov_b64 s[2:3], 0
	v_mov_b32_e32 v10, s19
	s_movk_i32 s34, 0x67
	v_mov_b32_e32 v11, -1
	s_branch .LBB10_4
.LBB10_3:                               ;   in Loop: Header=BB10_4 Depth=1
	s_or_b64 exec, exec, s[6:7]
	v_add_u32_e32 v8, 64, v8
	v_cmp_ge_i32_e32 vcc, v8, v7
	s_or_b64 s[2:3], vcc, s[2:3]
	s_andn2_b64 exec, exec, s[2:3]
	s_cbranch_execz .LBB10_11
.LBB10_4:                               ; =>This Loop Header: Depth=1
                                        ;     Child Loop BB10_7 Depth 2
	v_ashrrev_i32_e32 v9, 31, v8
	v_lshlrev_b64 v[12:13], 2, v[8:9]
	v_add_co_u32_e32 v12, vcc, s18, v12
	v_addc_co_u32_e32 v13, vcc, v10, v13, vcc
	global_load_dword v9, v[12:13], off
	s_waitcnt vmcnt(0)
	v_mul_lo_u32 v12, v9, s34
	v_and_b32_e32 v12, 0x1ff, v12
	v_lshl_add_u32 v13, v12, 2, v16
	ds_read_b32 v14, v13
	s_waitcnt lgkmcnt(0)
	v_cmp_ne_u32_e32 vcc, v14, v9
	s_and_saveexec_b64 s[6:7], vcc
	s_cbranch_execz .LBB10_3
; %bb.5:                                ;   in Loop: Header=BB10_4 Depth=1
	s_mov_b64 s[10:11], 0
                                        ; implicit-def: $sgpr24_sgpr25
                                        ; implicit-def: $sgpr28_sgpr29
                                        ; implicit-def: $sgpr26_sgpr27
	s_branch .LBB10_7
.LBB10_6:                               ;   in Loop: Header=BB10_7 Depth=2
	s_or_b64 exec, exec, s[30:31]
	s_and_b64 s[30:31], exec, s[28:29]
	s_or_b64 s[10:11], s[30:31], s[10:11]
	s_andn2_b64 s[24:25], s[24:25], exec
	s_and_b64 s[30:31], s[26:27], exec
	s_or_b64 s[24:25], s[24:25], s[30:31]
	s_andn2_b64 exec, exec, s[10:11]
	s_cbranch_execz .LBB10_9
.LBB10_7:                               ;   Parent Loop BB10_4 Depth=1
                                        ; =>  This Inner Loop Header: Depth=2
	ds_cmpst_rtn_b32 v13, v13, v11, v9
	v_mov_b32_e32 v14, v12
	s_or_b64 s[26:27], s[26:27], exec
	s_or_b64 s[28:29], s[28:29], exec
                                        ; implicit-def: $vgpr12
	s_waitcnt lgkmcnt(0)
	v_cmp_ne_u32_e32 vcc, -1, v13
                                        ; implicit-def: $vgpr13
	s_and_saveexec_b64 s[30:31], vcc
	s_cbranch_execz .LBB10_6
; %bb.8:                                ;   in Loop: Header=BB10_7 Depth=2
	v_add_u32_e32 v12, 1, v14
	v_and_b32_e32 v12, 0x1ff, v12
	v_lshl_add_u32 v13, v12, 2, v16
	ds_read_b32 v15, v13
	s_andn2_b64 s[28:29], s[28:29], exec
	s_andn2_b64 s[26:27], s[26:27], exec
	s_waitcnt lgkmcnt(0)
	v_cmp_eq_u32_e32 vcc, v15, v9
	s_and_b64 s[36:37], vcc, exec
	s_or_b64 s[28:29], s[28:29], s[36:37]
	s_branch .LBB10_6
.LBB10_9:                               ;   in Loop: Header=BB10_4 Depth=1
	s_or_b64 exec, exec, s[10:11]
	s_and_saveexec_b64 s[10:11], s[24:25]
	s_xor_b64 s[10:11], exec, s[10:11]
	s_cbranch_execz .LBB10_3
; %bb.10:                               ;   in Loop: Header=BB10_4 Depth=1
	v_lshl_add_u32 v9, v14, 2, v3
	ds_write_b32 v9, v8
	s_branch .LBB10_3
.LBB10_11:
	s_or_b64 exec, exec, s[0:1]
	s_waitcnt vmcnt(0)
	v_cmp_lt_i32_e32 vcc, v6, v4
	v_mov_b32_e32 v17, 0
	s_waitcnt lgkmcnt(0)
	s_and_saveexec_b64 s[6:7], vcc
	s_cbranch_execz .LBB10_33
; %bb.12:
	v_add_u32_e32 v18, -1, v4
	v_subrev_u32_e32 v19, s33, v5
	v_cmp_eq_u32_e64 s[0:1], 63, v5
	s_mov_b64 s[10:11], 0
	v_mov_b32_e32 v17, 0
	v_mov_b32_e32 v20, s19
	;; [unrolled: 1-line block ×6, first 2 shown]
	s_movk_i32 s17, 0x67
	s_branch .LBB10_15
.LBB10_13:                              ;   in Loop: Header=BB10_15 Depth=1
	s_or_b64 exec, exec, s[26:27]
.LBB10_14:                              ;   in Loop: Header=BB10_15 Depth=1
	s_or_b64 exec, exec, s[24:25]
	v_add_u32_e32 v6, 1, v6
	v_cmp_ge_i32_e32 vcc, v6, v4
	s_xor_b64 s[2:3], s[2:3], -1
	s_or_b64 s[2:3], s[2:3], vcc
	s_and_b64 s[2:3], exec, s[2:3]
	s_or_b64 s[10:11], s[2:3], s[10:11]
	s_andn2_b64 exec, exec, s[10:11]
	s_cbranch_execz .LBB10_32
.LBB10_15:                              ; =>This Loop Header: Depth=1
                                        ;     Child Loop BB10_16 Depth 2
                                        ;     Child Loop BB10_22 Depth 2
                                        ;       Child Loop BB10_25 Depth 3
	v_ashrrev_i32_e32 v7, 31, v6
	v_lshlrev_b64 v[8:9], 2, v[6:7]
	v_add_co_u32_e32 v10, vcc, s18, v8
	v_addc_co_u32_e32 v11, vcc, v20, v9, vcc
	global_load_dword v10, v[10:11], off
	v_add_co_u32_e32 v8, vcc, s20, v8
	v_addc_co_u32_e32 v9, vcc, v21, v9, vcc
	global_load_dword v7, v[8:9], off
	s_mov_b64 s[2:3], 0
	s_waitcnt vmcnt(1)
	v_subrev_u32_e32 v10, s33, v10
	v_ashrrev_i32_e32 v11, 31, v10
	v_lshlrev_b64 v[10:11], 2, v[10:11]
	v_add_co_u32_e32 v14, vcc, s16, v10
	v_addc_co_u32_e32 v15, vcc, v22, v11, vcc
	v_add_co_u32_e32 v26, vcc, s22, v10
	v_addc_co_u32_e32 v27, vcc, v23, v11, vcc
	global_load_dword v12, v[14:15], off
	global_load_dword v13, v[26:27], off
	v_add_co_u32_e32 v10, vcc, s8, v10
	v_addc_co_u32_e32 v11, vcc, v24, v11, vcc
.LBB10_16:                              ;   Parent Loop BB10_15 Depth=1
                                        ; =>  This Inner Loop Header: Depth=2
	global_load_dword v14, v[10:11], off glc
	s_waitcnt vmcnt(0)
	v_cmp_ne_u32_e32 vcc, 0, v14
	s_or_b64 s[2:3], vcc, s[2:3]
	s_andn2_b64 exec, exec, s[2:3]
	s_cbranch_execnz .LBB10_16
; %bb.17:                               ;   in Loop: Header=BB10_15 Depth=1
	s_or_b64 exec, exec, s[2:3]
	v_cmp_eq_u32_e32 vcc, -1, v13
	v_cndmask_b32_e32 v10, v13, v18, vcc
	v_ashrrev_i32_e32 v11, 31, v10
	v_lshlrev_b64 v[14:15], 2, v[10:11]
	v_add_co_u32_e32 v14, vcc, s20, v14
	v_addc_co_u32_e32 v15, vcc, v21, v15, vcc
	buffer_wbinvl1_vol
	global_load_dword v11, v[14:15], off
	s_waitcnt vmcnt(0)
	v_cmp_neq_f32_e64 s[2:3], 0, v11
	s_and_saveexec_b64 s[24:25], s[2:3]
	s_cbranch_execz .LBB10_14
; %bb.18:                               ;   in Loop: Header=BB10_15 Depth=1
	v_add_u32_e32 v12, v19, v12
	v_cmp_lt_i32_e32 vcc, v12, v10
	v_mov_b32_e32 v25, 0
	s_and_saveexec_b64 s[26:27], vcc
	s_cbranch_execz .LBB10_30
; %bb.19:                               ;   in Loop: Header=BB10_15 Depth=1
	s_mov_b64 s[28:29], 0
	v_mov_b32_e32 v25, 0
	s_branch .LBB10_22
.LBB10_20:                              ;   in Loop: Header=BB10_22 Depth=2
	s_or_b64 exec, exec, s[34:35]
.LBB10_21:                              ;   in Loop: Header=BB10_22 Depth=2
	s_or_b64 exec, exec, s[30:31]
	v_add_u32_e32 v12, 64, v12
	v_cmp_ge_i32_e32 vcc, v12, v10
	s_or_b64 s[28:29], vcc, s[28:29]
	s_andn2_b64 exec, exec, s[28:29]
	s_cbranch_execz .LBB10_29
.LBB10_22:                              ;   Parent Loop BB10_15 Depth=1
                                        ; =>  This Loop Header: Depth=2
                                        ;       Child Loop BB10_25 Depth 3
	v_ashrrev_i32_e32 v13, 31, v12
	v_lshlrev_b64 v[14:15], 2, v[12:13]
	v_add_co_u32_e32 v26, vcc, s18, v14
	v_addc_co_u32_e32 v27, vcc, v20, v15, vcc
	global_load_dword v13, v[26:27], off
	s_waitcnt vmcnt(0)
	v_mul_lo_u32 v26, v13, s17
	v_and_b32_e32 v28, 0x1ff, v26
	v_lshl_add_u32 v26, v28, 2, v16
	ds_read_b32 v27, v26
	s_waitcnt lgkmcnt(0)
	v_cmp_ne_u32_e32 vcc, -1, v27
	s_and_saveexec_b64 s[30:31], vcc
	s_cbranch_execz .LBB10_21
; %bb.23:                               ;   in Loop: Header=BB10_22 Depth=2
	s_mov_b64 s[34:35], 0
                                        ; implicit-def: $sgpr36_sgpr37
                                        ; implicit-def: $sgpr40_sgpr41
                                        ; implicit-def: $sgpr38_sgpr39
	s_branch .LBB10_25
.LBB10_24:                              ;   in Loop: Header=BB10_25 Depth=3
	s_or_b64 exec, exec, s[42:43]
	s_and_b64 s[42:43], exec, s[40:41]
	s_or_b64 s[34:35], s[42:43], s[34:35]
	s_andn2_b64 s[36:37], s[36:37], exec
	s_and_b64 s[42:43], s[38:39], exec
	s_or_b64 s[36:37], s[36:37], s[42:43]
	s_andn2_b64 exec, exec, s[34:35]
	s_cbranch_execz .LBB10_27
.LBB10_25:                              ;   Parent Loop BB10_15 Depth=1
                                        ;     Parent Loop BB10_22 Depth=2
                                        ; =>    This Inner Loop Header: Depth=3
	v_mov_b32_e32 v26, v28
	v_cmp_ne_u32_e32 vcc, v27, v13
	s_or_b64 s[38:39], s[38:39], exec
	s_or_b64 s[40:41], s[40:41], exec
                                        ; implicit-def: $vgpr28
                                        ; implicit-def: $vgpr27
	s_and_saveexec_b64 s[42:43], vcc
	s_cbranch_execz .LBB10_24
; %bb.26:                               ;   in Loop: Header=BB10_25 Depth=3
	v_add_u32_e32 v27, 1, v26
	v_and_b32_e32 v28, 0x1ff, v27
	v_lshl_add_u32 v27, v28, 2, v16
	ds_read_b32 v27, v27
	s_andn2_b64 s[40:41], s[40:41], exec
	s_andn2_b64 s[38:39], s[38:39], exec
	s_waitcnt lgkmcnt(0)
	v_cmp_eq_u32_e32 vcc, -1, v27
	s_and_b64 s[44:45], vcc, exec
	s_or_b64 s[40:41], s[40:41], s[44:45]
	s_branch .LBB10_24
.LBB10_27:                              ;   in Loop: Header=BB10_22 Depth=2
	s_or_b64 exec, exec, s[34:35]
	s_and_saveexec_b64 s[34:35], s[36:37]
	s_xor_b64 s[34:35], exec, s[34:35]
	s_cbranch_execz .LBB10_20
; %bb.28:                               ;   in Loop: Header=BB10_22 Depth=2
	v_lshl_add_u32 v13, v26, 2, v3
	ds_read_b32 v26, v13
	v_add_co_u32_e32 v14, vcc, s20, v14
	v_addc_co_u32_e32 v15, vcc, v21, v15, vcc
	s_waitcnt lgkmcnt(0)
	v_ashrrev_i32_e32 v27, 31, v26
	v_lshlrev_b64 v[26:27], 2, v[26:27]
	v_add_co_u32_e32 v26, vcc, s20, v26
	v_addc_co_u32_e32 v27, vcc, v21, v27, vcc
	global_load_dword v13, v[14:15], off
	global_load_dword v28, v[26:27], off
	s_waitcnt vmcnt(0)
	v_fmac_f32_e32 v25, v13, v28
	s_branch .LBB10_20
.LBB10_29:                              ;   in Loop: Header=BB10_15 Depth=1
	s_or_b64 exec, exec, s[28:29]
.LBB10_30:                              ;   in Loop: Header=BB10_15 Depth=1
	s_or_b64 exec, exec, s[26:27]
	v_mov_b32_dpp v10, v25 row_shr:1 row_mask:0xf bank_mask:0xf
	v_add_f32_e32 v10, v25, v10
	s_nop 1
	v_mov_b32_dpp v12, v10 row_shr:2 row_mask:0xf bank_mask:0xf
	v_add_f32_e32 v10, v10, v12
	s_nop 1
	;; [unrolled: 3-line block ×4, first 2 shown]
	v_mov_b32_dpp v12, v10 row_bcast:15 row_mask:0xa bank_mask:0xf
	v_add_f32_e32 v10, v10, v12
	s_nop 1
	v_mov_b32_dpp v12, v10 row_bcast:31 row_mask:0xc bank_mask:0xf
	s_and_saveexec_b64 s[26:27], s[0:1]
	s_cbranch_execz .LBB10_13
; %bb.31:                               ;   in Loop: Header=BB10_15 Depth=1
	v_div_scale_f32 v13, s[28:29], v11, v11, 1.0
	v_rcp_f32_e32 v14, v13
	v_div_scale_f32 v15, vcc, 1.0, v11, 1.0
	v_add_f32_e32 v10, v10, v12
	v_fma_f32 v25, -v13, v14, 1.0
	v_fmac_f32_e32 v14, v25, v14
	v_mul_f32_e32 v25, v15, v14
	v_fma_f32 v26, -v13, v25, v15
	v_fmac_f32_e32 v25, v26, v14
	v_fma_f32 v13, -v13, v25, v15
	v_div_fmas_f32 v13, v13, v14, v25
	v_div_fixup_f32 v11, v13, v11, 1.0
	v_sub_f32_e32 v7, v7, v10
	v_mul_f32_e32 v7, v11, v7
	v_fmac_f32_e32 v17, v7, v7
	global_store_dword v[8:9], v7, off
	s_branch .LBB10_13
.LBB10_32:
	s_or_b64 exec, exec, s[10:11]
.LBB10_33:
	s_or_b64 exec, exec, s[6:7]
	v_cmp_eq_u32_e32 vcc, 63, v5
	v_cmp_lt_i32_e64 s[0:1], -1, v4
	s_and_b64 s[0:1], vcc, s[0:1]
	s_and_saveexec_b64 s[6:7], s[0:1]
	s_cbranch_execz .LBB10_44
; %bb.34:
	v_mov_b32_e32 v5, 0
	v_lshlrev_b64 v[4:5], 2, v[4:5]
	v_mov_b32_e32 v3, s21
	v_add_co_u32_e64 v4, s[0:1], s20, v4
	v_addc_co_u32_e64 v5, s[0:1], v3, v5, s[0:1]
	global_load_dword v3, v[4:5], off
	s_load_dwordx2 s[0:1], s[4:5], 0x48
	v_add_u32_e32 v2, s33, v2
	s_waitcnt lgkmcnt(0)
	v_mul_f64 v[6:7], s[0:1], s[0:1]
	s_waitcnt vmcnt(0)
	v_sub_f32_e32 v3, v3, v17
	v_cvt_f64_f32_e32 v[8:9], v3
	v_cmp_ge_f64_e64 s[0:1], v[6:7], v[8:9]
	s_and_saveexec_b64 s[2:3], s[0:1]
	s_cbranch_execz .LBB10_39
; %bb.35:
	s_mov_b64 s[0:1], exec
	s_brev_b32 s4, -2
.LBB10_36:                              ; =>This Inner Loop Header: Depth=1
	s_ff1_i32_b64 s5, s[0:1]
	v_readlane_b32 s16, v2, s5
	s_lshl_b64 s[10:11], 1, s5
	s_min_i32 s4, s4, s16
	s_andn2_b64 s[0:1], s[0:1], s[10:11]
	s_cmp_lg_u64 s[0:1], 0
	s_cbranch_scc1 .LBB10_36
; %bb.37:
	v_mbcnt_lo_u32_b32 v6, exec_lo, 0
	v_mbcnt_hi_u32_b32 v6, exec_hi, v6
	v_cmp_eq_u32_e64 s[0:1], 0, v6
	s_and_saveexec_b64 s[10:11], s[0:1]
	s_xor_b64 s[10:11], exec, s[10:11]
	s_cbranch_execz .LBB10_39
; %bb.38:
	v_mov_b32_e32 v6, 0
	v_mov_b32_e32 v7, s4
	global_atomic_smin v6, v7, s[14:15]
.LBB10_39:
	s_or_b64 exec, exec, s[2:3]
	v_cmp_gt_f32_e64 s[0:1], 0, v3
	v_cndmask_b32_e64 v3, v3, -v3, s[0:1]
	s_mov_b32 s0, 0xf800000
	v_mul_f32_e32 v6, 0x4f800000, v3
	v_cmp_gt_f32_e64 s[0:1], s0, v3
	v_cndmask_b32_e64 v3, v3, v6, s[0:1]
	v_sqrt_f32_e32 v6, v3
	v_add_u32_e32 v7, -1, v6
	v_fma_f32 v8, -v7, v6, v3
	v_cmp_ge_f32_e64 s[2:3], 0, v8
	v_add_u32_e32 v8, 1, v6
	v_cndmask_b32_e64 v7, v6, v7, s[2:3]
	v_fma_f32 v6, -v8, v6, v3
	v_cmp_lt_f32_e64 s[2:3], 0, v6
	v_cndmask_b32_e64 v6, v7, v8, s[2:3]
	v_mul_f32_e32 v7, 0x37800000, v6
	v_cndmask_b32_e64 v6, v6, v7, s[0:1]
	v_mov_b32_e32 v7, 0x260
	v_cmp_class_f32_e64 s[0:1], v3, v7
	v_cndmask_b32_e64 v3, v6, v3, s[0:1]
	v_cmp_eq_f32_e64 s[0:1], 0, v3
	global_store_dword v[4:5], v3, off
	s_and_b64 exec, exec, s[0:1]
	s_cbranch_execz .LBB10_44
; %bb.40:
	s_mov_b64 s[0:1], exec
	s_brev_b32 s2, -2
.LBB10_41:                              ; =>This Inner Loop Header: Depth=1
	s_ff1_i32_b64 s3, s[0:1]
	v_readlane_b32 s10, v2, s3
	s_lshl_b64 s[4:5], 1, s3
	s_min_i32 s2, s2, s10
	s_andn2_b64 s[0:1], s[0:1], s[4:5]
	s_cmp_lg_u64 s[0:1], 0
	s_cbranch_scc1 .LBB10_41
; %bb.42:
	v_mbcnt_lo_u32_b32 v2, exec_lo, 0
	v_mbcnt_hi_u32_b32 v2, exec_hi, v2
	v_cmp_eq_u32_e64 s[0:1], 0, v2
	s_and_saveexec_b64 s[4:5], s[0:1]
	s_xor_b64 s[4:5], exec, s[4:5]
	s_cbranch_execz .LBB10_44
; %bb.43:
	v_mov_b32_e32 v2, 0
	v_mov_b32_e32 v3, s2
	global_atomic_smin v2, v3, s[12:13]
.LBB10_44:
	s_or_b64 exec, exec, s[6:7]
	s_and_b64 exec, exec, vcc
	s_cbranch_execz .LBB10_46
; %bb.45:
	v_mov_b32_e32 v2, s9
	v_add_co_u32_e32 v0, vcc, s8, v0
	v_addc_co_u32_e32 v1, vcc, v2, v1, vcc
	v_mov_b32_e32 v2, 1
	s_waitcnt vmcnt(0)
	global_store_dword v[0:1], v2, off
.LBB10_46:
	s_endpgm
	.section	.rodata,"a",@progbits
	.p2align	6, 0x0
	.amdhsa_kernel _ZN9rocsparseL18csric0_hash_kernelILj256ELj64ELj8EfEEviPKiS2_PT2_S2_PiS2_S5_S5_d21rocsparse_index_base_
		.amdhsa_group_segment_fixed_size 16384
		.amdhsa_private_segment_fixed_size 0
		.amdhsa_kernarg_size 84
		.amdhsa_user_sgpr_count 6
		.amdhsa_user_sgpr_private_segment_buffer 1
		.amdhsa_user_sgpr_dispatch_ptr 0
		.amdhsa_user_sgpr_queue_ptr 0
		.amdhsa_user_sgpr_kernarg_segment_ptr 1
		.amdhsa_user_sgpr_dispatch_id 0
		.amdhsa_user_sgpr_flat_scratch_init 0
		.amdhsa_user_sgpr_kernarg_preload_length 0
		.amdhsa_user_sgpr_kernarg_preload_offset 0
		.amdhsa_user_sgpr_private_segment_size 0
		.amdhsa_uses_dynamic_stack 0
		.amdhsa_system_sgpr_private_segment_wavefront_offset 0
		.amdhsa_system_sgpr_workgroup_id_x 1
		.amdhsa_system_sgpr_workgroup_id_y 0
		.amdhsa_system_sgpr_workgroup_id_z 0
		.amdhsa_system_sgpr_workgroup_info 0
		.amdhsa_system_vgpr_workitem_id 0
		.amdhsa_next_free_vgpr 29
		.amdhsa_next_free_sgpr 46
		.amdhsa_accum_offset 32
		.amdhsa_reserve_vcc 1
		.amdhsa_reserve_flat_scratch 0
		.amdhsa_float_round_mode_32 0
		.amdhsa_float_round_mode_16_64 0
		.amdhsa_float_denorm_mode_32 3
		.amdhsa_float_denorm_mode_16_64 3
		.amdhsa_dx10_clamp 1
		.amdhsa_ieee_mode 1
		.amdhsa_fp16_overflow 0
		.amdhsa_tg_split 0
		.amdhsa_exception_fp_ieee_invalid_op 0
		.amdhsa_exception_fp_denorm_src 0
		.amdhsa_exception_fp_ieee_div_zero 0
		.amdhsa_exception_fp_ieee_overflow 0
		.amdhsa_exception_fp_ieee_underflow 0
		.amdhsa_exception_fp_ieee_inexact 0
		.amdhsa_exception_int_div_zero 0
	.end_amdhsa_kernel
	.section	.text._ZN9rocsparseL18csric0_hash_kernelILj256ELj64ELj8EfEEviPKiS2_PT2_S2_PiS2_S5_S5_d21rocsparse_index_base_,"axG",@progbits,_ZN9rocsparseL18csric0_hash_kernelILj256ELj64ELj8EfEEviPKiS2_PT2_S2_PiS2_S5_S5_d21rocsparse_index_base_,comdat
.Lfunc_end10:
	.size	_ZN9rocsparseL18csric0_hash_kernelILj256ELj64ELj8EfEEviPKiS2_PT2_S2_PiS2_S5_S5_d21rocsparse_index_base_, .Lfunc_end10-_ZN9rocsparseL18csric0_hash_kernelILj256ELj64ELj8EfEEviPKiS2_PT2_S2_PiS2_S5_S5_d21rocsparse_index_base_
                                        ; -- End function
	.section	.AMDGPU.csdata,"",@progbits
; Kernel info:
; codeLenInByte = 1952
; NumSgprs: 50
; NumVgprs: 29
; NumAgprs: 0
; TotalNumVgprs: 29
; ScratchSize: 0
; MemoryBound: 0
; FloatMode: 240
; IeeeMode: 1
; LDSByteSize: 16384 bytes/workgroup (compile time only)
; SGPRBlocks: 6
; VGPRBlocks: 3
; NumSGPRsForWavesPerEU: 50
; NumVGPRsForWavesPerEU: 29
; AccumOffset: 32
; Occupancy: 4
; WaveLimiterHint : 1
; COMPUTE_PGM_RSRC2:SCRATCH_EN: 0
; COMPUTE_PGM_RSRC2:USER_SGPR: 6
; COMPUTE_PGM_RSRC2:TRAP_HANDLER: 0
; COMPUTE_PGM_RSRC2:TGID_X_EN: 1
; COMPUTE_PGM_RSRC2:TGID_Y_EN: 0
; COMPUTE_PGM_RSRC2:TGID_Z_EN: 0
; COMPUTE_PGM_RSRC2:TIDIG_COMP_CNT: 0
; COMPUTE_PGM_RSRC3_GFX90A:ACCUM_OFFSET: 7
; COMPUTE_PGM_RSRC3_GFX90A:TG_SPLIT: 0
	.section	.text._ZN9rocsparseL18csric0_hash_kernelILj256ELj64ELj16EfEEviPKiS2_PT2_S2_PiS2_S5_S5_d21rocsparse_index_base_,"axG",@progbits,_ZN9rocsparseL18csric0_hash_kernelILj256ELj64ELj16EfEEviPKiS2_PT2_S2_PiS2_S5_S5_d21rocsparse_index_base_,comdat
	.globl	_ZN9rocsparseL18csric0_hash_kernelILj256ELj64ELj16EfEEviPKiS2_PT2_S2_PiS2_S5_S5_d21rocsparse_index_base_ ; -- Begin function _ZN9rocsparseL18csric0_hash_kernelILj256ELj64ELj16EfEEviPKiS2_PT2_S2_PiS2_S5_S5_d21rocsparse_index_base_
	.p2align	8
	.type	_ZN9rocsparseL18csric0_hash_kernelILj256ELj64ELj16EfEEviPKiS2_PT2_S2_PiS2_S5_S5_d21rocsparse_index_base_,@function
_ZN9rocsparseL18csric0_hash_kernelILj256ELj64ELj16EfEEviPKiS2_PT2_S2_PiS2_S5_S5_d21rocsparse_index_base_: ; @_ZN9rocsparseL18csric0_hash_kernelILj256ELj64ELj16EfEEviPKiS2_PT2_S2_PiS2_S5_S5_d21rocsparse_index_base_
; %bb.0:
	s_load_dwordx8 s[16:23], s[4:5], 0x8
	s_load_dwordx8 s[8:15], s[4:5], 0x28
	v_and_b32_e32 v7, 63, v0
	v_lshrrev_b32_e32 v1, 6, v0
	v_lshlrev_b32_e32 v3, 12, v1
	v_lshlrev_b32_e32 v4, 2, v7
	s_movk_i32 s0, 0x4000
	v_or_b32_e32 v2, 0xffffffc0, v7
	v_or3_b32 v3, v3, v4, s0
	s_mov_b64 s[0:1], 0
	v_mov_b32_e32 v4, -1
	s_movk_i32 s2, 0x3bf
.LBB11_1:                               ; =>This Inner Loop Header: Depth=1
	v_add_u32_e32 v2, 64, v2
	v_cmp_lt_u32_e32 vcc, s2, v2
	ds_write_b32 v3, v4
	s_or_b64 s[0:1], vcc, s[0:1]
	v_add_u32_e32 v3, 0x100, v3
	s_andn2_b64 exec, exec, s[0:1]
	s_cbranch_execnz .LBB11_1
; %bb.2:
	s_or_b64 exec, exec, s[0:1]
	s_load_dword s0, s[4:5], 0x0
	s_lshl_b32 s1, s6, 2
	s_and_b32 s1, s1, 0x3fffffc
	v_or_b32_e32 v1, s1, v1
	s_waitcnt lgkmcnt(0)
	v_cmp_gt_i32_e32 vcc, s0, v1
	s_and_saveexec_b64 s[0:1], vcc
	s_cbranch_execz .LBB11_48
; %bb.3:
	v_lshlrev_b32_e32 v1, 2, v1
	global_load_dword v4, v1, s[10:11]
	v_mov_b32_e32 v6, s17
	v_mov_b32_e32 v1, s23
	s_load_dword s33, s[4:5], 0x50
	v_lshlrev_b32_e32 v0, 6, v0
	s_waitcnt vmcnt(0)
	v_ashrrev_i32_e32 v5, 31, v4
	v_lshlrev_b64 v[2:3], 2, v[4:5]
	v_add_co_u32_e32 v8, vcc, s16, v2
	v_addc_co_u32_e32 v9, vcc, v6, v3, vcc
	global_load_dwordx2 v[8:9], v[8:9], off
	v_add_co_u32_e32 v10, vcc, s22, v2
	v_addc_co_u32_e32 v11, vcc, v1, v3, vcc
	global_load_dword v6, v[10:11], off
	v_and_b32_e32 v5, 0x3000, v0
	v_or_b32_e32 v16, 0x4000, v5
	s_waitcnt vmcnt(1) lgkmcnt(0)
	v_subrev_u32_e32 v0, s33, v8
	v_subrev_u32_e32 v1, s33, v9
	v_add_u32_e32 v8, v0, v7
	v_cmp_lt_i32_e32 vcc, v8, v1
	s_and_saveexec_b64 s[0:1], vcc
	s_cbranch_execz .LBB11_13
; %bb.4:
	s_mov_b64 s[2:3], 0
	v_mov_b32_e32 v10, s19
	s_movk_i32 s34, 0x67
	v_mov_b32_e32 v11, -1
	s_branch .LBB11_6
.LBB11_5:                               ;   in Loop: Header=BB11_6 Depth=1
	s_or_b64 exec, exec, s[6:7]
	v_add_u32_e32 v8, 64, v8
	v_cmp_ge_i32_e32 vcc, v8, v1
	s_or_b64 s[2:3], vcc, s[2:3]
	s_andn2_b64 exec, exec, s[2:3]
	s_cbranch_execz .LBB11_13
.LBB11_6:                               ; =>This Loop Header: Depth=1
                                        ;     Child Loop BB11_9 Depth 2
	v_ashrrev_i32_e32 v9, 31, v8
	v_lshlrev_b64 v[12:13], 2, v[8:9]
	v_add_co_u32_e32 v12, vcc, s18, v12
	v_addc_co_u32_e32 v13, vcc, v10, v13, vcc
	global_load_dword v9, v[12:13], off
	s_waitcnt vmcnt(0)
	v_mul_lo_u32 v12, v9, s34
	v_and_b32_e32 v12, 0x3ff, v12
	v_lshl_add_u32 v13, v12, 2, v16
	ds_read_b32 v14, v13
	s_waitcnt lgkmcnt(0)
	v_cmp_ne_u32_e32 vcc, v14, v9
	s_and_saveexec_b64 s[6:7], vcc
	s_cbranch_execz .LBB11_5
; %bb.7:                                ;   in Loop: Header=BB11_6 Depth=1
	s_mov_b64 s[10:11], 0
                                        ; implicit-def: $sgpr24_sgpr25
                                        ; implicit-def: $sgpr28_sgpr29
                                        ; implicit-def: $sgpr26_sgpr27
	s_branch .LBB11_9
.LBB11_8:                               ;   in Loop: Header=BB11_9 Depth=2
	s_or_b64 exec, exec, s[30:31]
	s_and_b64 s[30:31], exec, s[28:29]
	s_or_b64 s[10:11], s[30:31], s[10:11]
	s_andn2_b64 s[24:25], s[24:25], exec
	s_and_b64 s[30:31], s[26:27], exec
	s_or_b64 s[24:25], s[24:25], s[30:31]
	s_andn2_b64 exec, exec, s[10:11]
	s_cbranch_execz .LBB11_11
.LBB11_9:                               ;   Parent Loop BB11_6 Depth=1
                                        ; =>  This Inner Loop Header: Depth=2
	ds_cmpst_rtn_b32 v13, v13, v11, v9
	v_mov_b32_e32 v14, v12
	s_or_b64 s[26:27], s[26:27], exec
	s_or_b64 s[28:29], s[28:29], exec
                                        ; implicit-def: $vgpr12
	s_waitcnt lgkmcnt(0)
	v_cmp_ne_u32_e32 vcc, -1, v13
                                        ; implicit-def: $vgpr13
	s_and_saveexec_b64 s[30:31], vcc
	s_cbranch_execz .LBB11_8
; %bb.10:                               ;   in Loop: Header=BB11_9 Depth=2
	v_add_u32_e32 v12, 1, v14
	v_and_b32_e32 v12, 0x3ff, v12
	v_lshl_add_u32 v13, v12, 2, v16
	ds_read_b32 v15, v13
	s_andn2_b64 s[28:29], s[28:29], exec
	s_andn2_b64 s[26:27], s[26:27], exec
	s_waitcnt lgkmcnt(0)
	v_cmp_eq_u32_e32 vcc, v15, v9
	s_and_b64 s[36:37], vcc, exec
	s_or_b64 s[28:29], s[28:29], s[36:37]
	s_branch .LBB11_8
.LBB11_11:                              ;   in Loop: Header=BB11_6 Depth=1
	s_or_b64 exec, exec, s[10:11]
	s_and_saveexec_b64 s[10:11], s[24:25]
	s_xor_b64 s[10:11], exec, s[10:11]
	s_cbranch_execz .LBB11_5
; %bb.12:                               ;   in Loop: Header=BB11_6 Depth=1
	v_lshl_add_u32 v9, v14, 2, v5
	ds_write_b32 v9, v8
	s_branch .LBB11_5
.LBB11_13:
	s_or_b64 exec, exec, s[0:1]
	s_waitcnt vmcnt(0)
	v_cmp_lt_i32_e32 vcc, v0, v6
	v_mov_b32_e32 v17, 0
	s_waitcnt lgkmcnt(0)
	s_and_saveexec_b64 s[6:7], vcc
	s_cbranch_execz .LBB11_35
; %bb.14:
	v_add_u32_e32 v18, -1, v6
	v_subrev_u32_e32 v19, s33, v7
	v_cmp_eq_u32_e64 s[0:1], 63, v7
	s_mov_b64 s[10:11], 0
	v_mov_b32_e32 v17, 0
	v_mov_b32_e32 v20, s19
	;; [unrolled: 1-line block ×6, first 2 shown]
	s_movk_i32 s17, 0x67
	s_branch .LBB11_17
.LBB11_15:                              ;   in Loop: Header=BB11_17 Depth=1
	s_or_b64 exec, exec, s[26:27]
.LBB11_16:                              ;   in Loop: Header=BB11_17 Depth=1
	s_or_b64 exec, exec, s[24:25]
	v_add_u32_e32 v0, 1, v0
	v_cmp_ge_i32_e32 vcc, v0, v6
	s_xor_b64 s[2:3], s[2:3], -1
	s_or_b64 s[2:3], s[2:3], vcc
	s_and_b64 s[2:3], exec, s[2:3]
	s_or_b64 s[10:11], s[2:3], s[10:11]
	s_andn2_b64 exec, exec, s[10:11]
	s_cbranch_execz .LBB11_34
.LBB11_17:                              ; =>This Loop Header: Depth=1
                                        ;     Child Loop BB11_18 Depth 2
                                        ;     Child Loop BB11_24 Depth 2
                                        ;       Child Loop BB11_27 Depth 3
	v_ashrrev_i32_e32 v1, 31, v0
	v_lshlrev_b64 v[8:9], 2, v[0:1]
	v_add_co_u32_e32 v10, vcc, s18, v8
	v_addc_co_u32_e32 v11, vcc, v20, v9, vcc
	global_load_dword v10, v[10:11], off
	v_add_co_u32_e32 v8, vcc, s20, v8
	v_addc_co_u32_e32 v9, vcc, v21, v9, vcc
	global_load_dword v1, v[8:9], off
	s_mov_b64 s[2:3], 0
	s_waitcnt vmcnt(1)
	v_subrev_u32_e32 v10, s33, v10
	v_ashrrev_i32_e32 v11, 31, v10
	v_lshlrev_b64 v[10:11], 2, v[10:11]
	v_add_co_u32_e32 v14, vcc, s16, v10
	v_addc_co_u32_e32 v15, vcc, v22, v11, vcc
	v_add_co_u32_e32 v26, vcc, s22, v10
	v_addc_co_u32_e32 v27, vcc, v23, v11, vcc
	global_load_dword v12, v[14:15], off
	global_load_dword v13, v[26:27], off
	v_add_co_u32_e32 v10, vcc, s8, v10
	v_addc_co_u32_e32 v11, vcc, v24, v11, vcc
.LBB11_18:                              ;   Parent Loop BB11_17 Depth=1
                                        ; =>  This Inner Loop Header: Depth=2
	global_load_dword v14, v[10:11], off glc
	s_waitcnt vmcnt(0)
	v_cmp_ne_u32_e32 vcc, 0, v14
	s_or_b64 s[2:3], vcc, s[2:3]
	s_andn2_b64 exec, exec, s[2:3]
	s_cbranch_execnz .LBB11_18
; %bb.19:                               ;   in Loop: Header=BB11_17 Depth=1
	s_or_b64 exec, exec, s[2:3]
	v_cmp_eq_u32_e32 vcc, -1, v13
	v_cndmask_b32_e32 v10, v13, v18, vcc
	v_ashrrev_i32_e32 v11, 31, v10
	v_lshlrev_b64 v[14:15], 2, v[10:11]
	v_add_co_u32_e32 v14, vcc, s20, v14
	v_addc_co_u32_e32 v15, vcc, v21, v15, vcc
	buffer_wbinvl1_vol
	global_load_dword v11, v[14:15], off
	s_waitcnt vmcnt(0)
	v_cmp_neq_f32_e64 s[2:3], 0, v11
	s_and_saveexec_b64 s[24:25], s[2:3]
	s_cbranch_execz .LBB11_16
; %bb.20:                               ;   in Loop: Header=BB11_17 Depth=1
	v_add_u32_e32 v12, v19, v12
	v_cmp_lt_i32_e32 vcc, v12, v10
	v_mov_b32_e32 v25, 0
	s_and_saveexec_b64 s[26:27], vcc
	s_cbranch_execz .LBB11_32
; %bb.21:                               ;   in Loop: Header=BB11_17 Depth=1
	s_mov_b64 s[28:29], 0
	v_mov_b32_e32 v25, 0
	s_branch .LBB11_24
.LBB11_22:                              ;   in Loop: Header=BB11_24 Depth=2
	s_or_b64 exec, exec, s[34:35]
.LBB11_23:                              ;   in Loop: Header=BB11_24 Depth=2
	s_or_b64 exec, exec, s[30:31]
	v_add_u32_e32 v12, 64, v12
	v_cmp_ge_i32_e32 vcc, v12, v10
	s_or_b64 s[28:29], vcc, s[28:29]
	s_andn2_b64 exec, exec, s[28:29]
	s_cbranch_execz .LBB11_31
.LBB11_24:                              ;   Parent Loop BB11_17 Depth=1
                                        ; =>  This Loop Header: Depth=2
                                        ;       Child Loop BB11_27 Depth 3
	v_ashrrev_i32_e32 v13, 31, v12
	v_lshlrev_b64 v[14:15], 2, v[12:13]
	v_add_co_u32_e32 v26, vcc, s18, v14
	v_addc_co_u32_e32 v27, vcc, v20, v15, vcc
	global_load_dword v13, v[26:27], off
	s_waitcnt vmcnt(0)
	v_mul_lo_u32 v26, v13, s17
	v_and_b32_e32 v28, 0x3ff, v26
	v_lshl_add_u32 v26, v28, 2, v16
	ds_read_b32 v27, v26
	s_waitcnt lgkmcnt(0)
	v_cmp_ne_u32_e32 vcc, -1, v27
	s_and_saveexec_b64 s[30:31], vcc
	s_cbranch_execz .LBB11_23
; %bb.25:                               ;   in Loop: Header=BB11_24 Depth=2
	s_mov_b64 s[34:35], 0
                                        ; implicit-def: $sgpr36_sgpr37
                                        ; implicit-def: $sgpr40_sgpr41
                                        ; implicit-def: $sgpr38_sgpr39
	s_branch .LBB11_27
.LBB11_26:                              ;   in Loop: Header=BB11_27 Depth=3
	s_or_b64 exec, exec, s[42:43]
	s_and_b64 s[42:43], exec, s[40:41]
	s_or_b64 s[34:35], s[42:43], s[34:35]
	s_andn2_b64 s[36:37], s[36:37], exec
	s_and_b64 s[42:43], s[38:39], exec
	s_or_b64 s[36:37], s[36:37], s[42:43]
	s_andn2_b64 exec, exec, s[34:35]
	s_cbranch_execz .LBB11_29
.LBB11_27:                              ;   Parent Loop BB11_17 Depth=1
                                        ;     Parent Loop BB11_24 Depth=2
                                        ; =>    This Inner Loop Header: Depth=3
	v_mov_b32_e32 v26, v28
	v_cmp_ne_u32_e32 vcc, v27, v13
	s_or_b64 s[38:39], s[38:39], exec
	s_or_b64 s[40:41], s[40:41], exec
                                        ; implicit-def: $vgpr28
                                        ; implicit-def: $vgpr27
	s_and_saveexec_b64 s[42:43], vcc
	s_cbranch_execz .LBB11_26
; %bb.28:                               ;   in Loop: Header=BB11_27 Depth=3
	v_add_u32_e32 v27, 1, v26
	v_and_b32_e32 v28, 0x3ff, v27
	v_lshl_add_u32 v27, v28, 2, v16
	ds_read_b32 v27, v27
	s_andn2_b64 s[40:41], s[40:41], exec
	s_andn2_b64 s[38:39], s[38:39], exec
	s_waitcnt lgkmcnt(0)
	v_cmp_eq_u32_e32 vcc, -1, v27
	s_and_b64 s[44:45], vcc, exec
	s_or_b64 s[40:41], s[40:41], s[44:45]
	s_branch .LBB11_26
.LBB11_29:                              ;   in Loop: Header=BB11_24 Depth=2
	s_or_b64 exec, exec, s[34:35]
	s_and_saveexec_b64 s[34:35], s[36:37]
	s_xor_b64 s[34:35], exec, s[34:35]
	s_cbranch_execz .LBB11_22
; %bb.30:                               ;   in Loop: Header=BB11_24 Depth=2
	v_lshl_add_u32 v13, v26, 2, v5
	ds_read_b32 v26, v13
	v_add_co_u32_e32 v14, vcc, s20, v14
	v_addc_co_u32_e32 v15, vcc, v21, v15, vcc
	s_waitcnt lgkmcnt(0)
	v_ashrrev_i32_e32 v27, 31, v26
	v_lshlrev_b64 v[26:27], 2, v[26:27]
	v_add_co_u32_e32 v26, vcc, s20, v26
	v_addc_co_u32_e32 v27, vcc, v21, v27, vcc
	global_load_dword v13, v[14:15], off
	global_load_dword v28, v[26:27], off
	s_waitcnt vmcnt(0)
	v_fmac_f32_e32 v25, v13, v28
	s_branch .LBB11_22
.LBB11_31:                              ;   in Loop: Header=BB11_17 Depth=1
	s_or_b64 exec, exec, s[28:29]
.LBB11_32:                              ;   in Loop: Header=BB11_17 Depth=1
	s_or_b64 exec, exec, s[26:27]
	v_mov_b32_dpp v10, v25 row_shr:1 row_mask:0xf bank_mask:0xf
	v_add_f32_e32 v10, v25, v10
	s_nop 1
	v_mov_b32_dpp v12, v10 row_shr:2 row_mask:0xf bank_mask:0xf
	v_add_f32_e32 v10, v10, v12
	s_nop 1
	;; [unrolled: 3-line block ×4, first 2 shown]
	v_mov_b32_dpp v12, v10 row_bcast:15 row_mask:0xa bank_mask:0xf
	v_add_f32_e32 v10, v10, v12
	s_nop 1
	v_mov_b32_dpp v12, v10 row_bcast:31 row_mask:0xc bank_mask:0xf
	s_and_saveexec_b64 s[26:27], s[0:1]
	s_cbranch_execz .LBB11_15
; %bb.33:                               ;   in Loop: Header=BB11_17 Depth=1
	v_div_scale_f32 v13, s[28:29], v11, v11, 1.0
	v_rcp_f32_e32 v14, v13
	v_div_scale_f32 v15, vcc, 1.0, v11, 1.0
	v_add_f32_e32 v10, v10, v12
	v_fma_f32 v25, -v13, v14, 1.0
	v_fmac_f32_e32 v14, v25, v14
	v_mul_f32_e32 v25, v15, v14
	v_fma_f32 v26, -v13, v25, v15
	v_fmac_f32_e32 v25, v26, v14
	v_fma_f32 v13, -v13, v25, v15
	v_div_fmas_f32 v13, v13, v14, v25
	v_div_fixup_f32 v11, v13, v11, 1.0
	v_sub_f32_e32 v1, v1, v10
	v_mul_f32_e32 v1, v11, v1
	v_fmac_f32_e32 v17, v1, v1
	global_store_dword v[8:9], v1, off
	s_branch .LBB11_15
.LBB11_34:
	s_or_b64 exec, exec, s[10:11]
.LBB11_35:
	s_or_b64 exec, exec, s[6:7]
	v_cmp_eq_u32_e32 vcc, 63, v7
	v_cmp_lt_i32_e64 s[0:1], -1, v6
	s_and_b64 s[0:1], vcc, s[0:1]
	s_and_saveexec_b64 s[6:7], s[0:1]
	s_cbranch_execz .LBB11_46
; %bb.36:
	v_mov_b32_e32 v7, 0
	v_lshlrev_b64 v[0:1], 2, v[6:7]
	v_mov_b32_e32 v5, s21
	v_add_co_u32_e64 v0, s[0:1], s20, v0
	v_addc_co_u32_e64 v1, s[0:1], v5, v1, s[0:1]
	global_load_dword v5, v[0:1], off
	s_load_dwordx2 s[0:1], s[4:5], 0x48
	v_add_u32_e32 v4, s33, v4
	s_waitcnt lgkmcnt(0)
	v_mul_f64 v[6:7], s[0:1], s[0:1]
	s_waitcnt vmcnt(0)
	v_sub_f32_e32 v5, v5, v17
	v_cvt_f64_f32_e32 v[8:9], v5
	v_cmp_ge_f64_e64 s[0:1], v[6:7], v[8:9]
	s_and_saveexec_b64 s[2:3], s[0:1]
	s_cbranch_execz .LBB11_41
; %bb.37:
	s_mov_b64 s[0:1], exec
	s_brev_b32 s4, -2
.LBB11_38:                              ; =>This Inner Loop Header: Depth=1
	s_ff1_i32_b64 s5, s[0:1]
	v_readlane_b32 s16, v4, s5
	s_lshl_b64 s[10:11], 1, s5
	s_min_i32 s4, s4, s16
	s_andn2_b64 s[0:1], s[0:1], s[10:11]
	s_cmp_lg_u64 s[0:1], 0
	s_cbranch_scc1 .LBB11_38
; %bb.39:
	v_mbcnt_lo_u32_b32 v6, exec_lo, 0
	v_mbcnt_hi_u32_b32 v6, exec_hi, v6
	v_cmp_eq_u32_e64 s[0:1], 0, v6
	s_and_saveexec_b64 s[10:11], s[0:1]
	s_xor_b64 s[10:11], exec, s[10:11]
	s_cbranch_execz .LBB11_41
; %bb.40:
	v_mov_b32_e32 v6, 0
	v_mov_b32_e32 v7, s4
	global_atomic_smin v6, v7, s[14:15]
.LBB11_41:
	s_or_b64 exec, exec, s[2:3]
	v_cmp_gt_f32_e64 s[0:1], 0, v5
	v_cndmask_b32_e64 v5, v5, -v5, s[0:1]
	s_mov_b32 s0, 0xf800000
	v_mul_f32_e32 v6, 0x4f800000, v5
	v_cmp_gt_f32_e64 s[0:1], s0, v5
	v_cndmask_b32_e64 v5, v5, v6, s[0:1]
	v_sqrt_f32_e32 v6, v5
	v_add_u32_e32 v7, -1, v6
	v_fma_f32 v8, -v7, v6, v5
	v_cmp_ge_f32_e64 s[2:3], 0, v8
	v_add_u32_e32 v8, 1, v6
	v_cndmask_b32_e64 v7, v6, v7, s[2:3]
	v_fma_f32 v6, -v8, v6, v5
	v_cmp_lt_f32_e64 s[2:3], 0, v6
	v_cndmask_b32_e64 v6, v7, v8, s[2:3]
	v_mul_f32_e32 v7, 0x37800000, v6
	v_cndmask_b32_e64 v6, v6, v7, s[0:1]
	v_mov_b32_e32 v7, 0x260
	v_cmp_class_f32_e64 s[0:1], v5, v7
	v_cndmask_b32_e64 v5, v6, v5, s[0:1]
	v_cmp_eq_f32_e64 s[0:1], 0, v5
	global_store_dword v[0:1], v5, off
	s_and_b64 exec, exec, s[0:1]
	s_cbranch_execz .LBB11_46
; %bb.42:
	s_mov_b64 s[0:1], exec
	s_brev_b32 s2, -2
.LBB11_43:                              ; =>This Inner Loop Header: Depth=1
	s_ff1_i32_b64 s3, s[0:1]
	v_readlane_b32 s10, v4, s3
	s_lshl_b64 s[4:5], 1, s3
	s_min_i32 s2, s2, s10
	s_andn2_b64 s[0:1], s[0:1], s[4:5]
	s_cmp_lg_u64 s[0:1], 0
	s_cbranch_scc1 .LBB11_43
; %bb.44:
	v_mbcnt_lo_u32_b32 v0, exec_lo, 0
	v_mbcnt_hi_u32_b32 v0, exec_hi, v0
	v_cmp_eq_u32_e64 s[0:1], 0, v0
	s_and_saveexec_b64 s[4:5], s[0:1]
	s_xor_b64 s[4:5], exec, s[4:5]
	s_cbranch_execz .LBB11_46
; %bb.45:
	v_mov_b32_e32 v0, 0
	v_mov_b32_e32 v1, s2
	global_atomic_smin v0, v1, s[12:13]
.LBB11_46:
	s_or_b64 exec, exec, s[6:7]
	s_and_b64 exec, exec, vcc
	s_cbranch_execz .LBB11_48
; %bb.47:
	v_mov_b32_e32 v1, s9
	v_add_co_u32_e32 v0, vcc, s8, v2
	v_addc_co_u32_e32 v1, vcc, v1, v3, vcc
	v_mov_b32_e32 v2, 1
	s_waitcnt vmcnt(0)
	global_store_dword v[0:1], v2, off
.LBB11_48:
	s_endpgm
	.section	.rodata,"a",@progbits
	.p2align	6, 0x0
	.amdhsa_kernel _ZN9rocsparseL18csric0_hash_kernelILj256ELj64ELj16EfEEviPKiS2_PT2_S2_PiS2_S5_S5_d21rocsparse_index_base_
		.amdhsa_group_segment_fixed_size 32768
		.amdhsa_private_segment_fixed_size 0
		.amdhsa_kernarg_size 84
		.amdhsa_user_sgpr_count 6
		.amdhsa_user_sgpr_private_segment_buffer 1
		.amdhsa_user_sgpr_dispatch_ptr 0
		.amdhsa_user_sgpr_queue_ptr 0
		.amdhsa_user_sgpr_kernarg_segment_ptr 1
		.amdhsa_user_sgpr_dispatch_id 0
		.amdhsa_user_sgpr_flat_scratch_init 0
		.amdhsa_user_sgpr_kernarg_preload_length 0
		.amdhsa_user_sgpr_kernarg_preload_offset 0
		.amdhsa_user_sgpr_private_segment_size 0
		.amdhsa_uses_dynamic_stack 0
		.amdhsa_system_sgpr_private_segment_wavefront_offset 0
		.amdhsa_system_sgpr_workgroup_id_x 1
		.amdhsa_system_sgpr_workgroup_id_y 0
		.amdhsa_system_sgpr_workgroup_id_z 0
		.amdhsa_system_sgpr_workgroup_info 0
		.amdhsa_system_vgpr_workitem_id 0
		.amdhsa_next_free_vgpr 29
		.amdhsa_next_free_sgpr 46
		.amdhsa_accum_offset 32
		.amdhsa_reserve_vcc 1
		.amdhsa_reserve_flat_scratch 0
		.amdhsa_float_round_mode_32 0
		.amdhsa_float_round_mode_16_64 0
		.amdhsa_float_denorm_mode_32 3
		.amdhsa_float_denorm_mode_16_64 3
		.amdhsa_dx10_clamp 1
		.amdhsa_ieee_mode 1
		.amdhsa_fp16_overflow 0
		.amdhsa_tg_split 0
		.amdhsa_exception_fp_ieee_invalid_op 0
		.amdhsa_exception_fp_denorm_src 0
		.amdhsa_exception_fp_ieee_div_zero 0
		.amdhsa_exception_fp_ieee_overflow 0
		.amdhsa_exception_fp_ieee_underflow 0
		.amdhsa_exception_fp_ieee_inexact 0
		.amdhsa_exception_int_div_zero 0
	.end_amdhsa_kernel
	.section	.text._ZN9rocsparseL18csric0_hash_kernelILj256ELj64ELj16EfEEviPKiS2_PT2_S2_PiS2_S5_S5_d21rocsparse_index_base_,"axG",@progbits,_ZN9rocsparseL18csric0_hash_kernelILj256ELj64ELj16EfEEviPKiS2_PT2_S2_PiS2_S5_S5_d21rocsparse_index_base_,comdat
.Lfunc_end11:
	.size	_ZN9rocsparseL18csric0_hash_kernelILj256ELj64ELj16EfEEviPKiS2_PT2_S2_PiS2_S5_S5_d21rocsparse_index_base_, .Lfunc_end11-_ZN9rocsparseL18csric0_hash_kernelILj256ELj64ELj16EfEEviPKiS2_PT2_S2_PiS2_S5_S5_d21rocsparse_index_base_
                                        ; -- End function
	.section	.AMDGPU.csdata,"",@progbits
; Kernel info:
; codeLenInByte = 1968
; NumSgprs: 50
; NumVgprs: 29
; NumAgprs: 0
; TotalNumVgprs: 29
; ScratchSize: 0
; MemoryBound: 0
; FloatMode: 240
; IeeeMode: 1
; LDSByteSize: 32768 bytes/workgroup (compile time only)
; SGPRBlocks: 6
; VGPRBlocks: 3
; NumSGPRsForWavesPerEU: 50
; NumVGPRsForWavesPerEU: 29
; AccumOffset: 32
; Occupancy: 2
; WaveLimiterHint : 1
; COMPUTE_PGM_RSRC2:SCRATCH_EN: 0
; COMPUTE_PGM_RSRC2:USER_SGPR: 6
; COMPUTE_PGM_RSRC2:TRAP_HANDLER: 0
; COMPUTE_PGM_RSRC2:TGID_X_EN: 1
; COMPUTE_PGM_RSRC2:TGID_Y_EN: 0
; COMPUTE_PGM_RSRC2:TGID_Z_EN: 0
; COMPUTE_PGM_RSRC2:TIDIG_COMP_CNT: 0
; COMPUTE_PGM_RSRC3_GFX90A:ACCUM_OFFSET: 7
; COMPUTE_PGM_RSRC3_GFX90A:TG_SPLIT: 0
	.section	.text._ZN9rocsparseL23csric0_binsearch_kernelILj256ELj64ELb0EfEEviPKiS2_PT2_S2_PiS2_S5_S5_d21rocsparse_index_base_,"axG",@progbits,_ZN9rocsparseL23csric0_binsearch_kernelILj256ELj64ELb0EfEEviPKiS2_PT2_S2_PiS2_S5_S5_d21rocsparse_index_base_,comdat
	.globl	_ZN9rocsparseL23csric0_binsearch_kernelILj256ELj64ELb0EfEEviPKiS2_PT2_S2_PiS2_S5_S5_d21rocsparse_index_base_ ; -- Begin function _ZN9rocsparseL23csric0_binsearch_kernelILj256ELj64ELb0EfEEviPKiS2_PT2_S2_PiS2_S5_S5_d21rocsparse_index_base_
	.p2align	8
	.type	_ZN9rocsparseL23csric0_binsearch_kernelILj256ELj64ELb0EfEEviPKiS2_PT2_S2_PiS2_S5_S5_d21rocsparse_index_base_,@function
_ZN9rocsparseL23csric0_binsearch_kernelILj256ELj64ELb0EfEEviPKiS2_PT2_S2_PiS2_S5_S5_d21rocsparse_index_base_: ; @_ZN9rocsparseL23csric0_binsearch_kernelILj256ELj64ELb0EfEEviPKiS2_PT2_S2_PiS2_S5_S5_d21rocsparse_index_base_
; %bb.0:
	s_load_dword s0, s[4:5], 0x0
	s_lshl_b32 s1, s6, 2
	v_lshrrev_b32_e32 v1, 6, v0
	s_and_b32 s1, s1, 0x3fffffc
	v_or_b32_e32 v1, s1, v1
	s_waitcnt lgkmcnt(0)
	v_cmp_gt_i32_e32 vcc, s0, v1
	s_and_saveexec_b64 s[0:1], vcc
	s_cbranch_execz .LBB12_47
; %bb.1:
	s_load_dwordx8 s[8:15], s[4:5], 0x18
	v_lshlrev_b32_e32 v1, 2, v1
	v_and_b32_e32 v7, 63, v0
	s_waitcnt lgkmcnt(0)
	global_load_dword v4, v1, s[14:15]
	s_load_dwordx2 s[14:15], s[4:5], 0x8
	v_mov_b32_e32 v1, s11
	s_waitcnt lgkmcnt(0)
	v_mov_b32_e32 v6, s15
	s_waitcnt vmcnt(0)
	v_ashrrev_i32_e32 v5, 31, v4
	v_lshlrev_b64 v[2:3], 2, v[4:5]
	v_add_co_u32_e32 v10, vcc, s10, v2
	v_addc_co_u32_e32 v11, vcc, v1, v3, vcc
	v_add_co_u32_e32 v8, vcc, s14, v2
	v_addc_co_u32_e32 v9, vcc, v6, v3, vcc
	global_load_dword v1, v[8:9], off
	global_load_dword v6, v[10:11], off
	s_load_dword s33, s[4:5], 0x50
	s_load_dwordx4 s[16:19], s[4:5], 0x38
	s_load_dwordx2 s[6:7], s[4:5], 0x48
	v_mov_b32_e32 v5, 0
	s_waitcnt vmcnt(1) lgkmcnt(0)
	v_subrev_u32_e32 v18, s33, v1
	s_waitcnt vmcnt(0)
	v_cmp_lt_i32_e32 vcc, v18, v6
	s_and_saveexec_b64 s[20:21], vcc
	s_cbranch_execz .LBB12_34
; %bb.2:
	global_load_dword v0, v[8:9], off offset:4
	s_load_dwordx2 s[22:23], s[4:5], 0x10
	v_add_u32_e32 v19, -1, v6
	v_cmp_eq_u32_e64 s[0:1], 0, v7
	v_subrev_u32_e32 v20, s33, v7
	v_cmp_eq_u32_e64 s[2:3], 63, v7
	s_mov_b64 s[24:25], 0
	v_mov_b32_e32 v21, 0
	v_mov_b32_e32 v22, s9
	;; [unrolled: 1-line block ×6, first 2 shown]
	s_waitcnt lgkmcnt(0)
	v_mov_b32_e32 v26, s23
	s_waitcnt vmcnt(0)
	v_xad_u32 v27, s33, -1, v0
	v_mov_b32_e32 v0, v18
	s_branch .LBB12_5
.LBB12_3:                               ;   in Loop: Header=BB12_5 Depth=1
	s_or_b64 exec, exec, s[28:29]
.LBB12_4:                               ;   in Loop: Header=BB12_5 Depth=1
	s_or_b64 exec, exec, s[26:27]
	v_add_u32_e32 v0, 1, v0
	v_cmp_ge_i32_e32 vcc, v0, v6
	s_xor_b64 s[4:5], s[4:5], -1
	s_or_b64 s[4:5], s[4:5], vcc
	s_and_b64 s[4:5], exec, s[4:5]
	s_or_b64 s[24:25], s[4:5], s[24:25]
	s_andn2_b64 exec, exec, s[24:25]
	s_cbranch_execz .LBB12_33
.LBB12_5:                               ; =>This Loop Header: Depth=1
                                        ;     Child Loop BB12_7 Depth 2
                                        ;     Child Loop BB12_11 Depth 2
	;; [unrolled: 1-line block ×4, first 2 shown]
                                        ;       Child Loop BB12_26 Depth 3
	v_ashrrev_i32_e32 v1, 31, v0
	v_lshlrev_b64 v[8:9], 2, v[0:1]
	v_add_co_u32_e32 v10, vcc, s22, v8
	v_addc_co_u32_e32 v11, vcc, v26, v9, vcc
	global_load_dword v12, v[10:11], off
	v_add_co_u32_e32 v8, vcc, s8, v8
	v_addc_co_u32_e32 v9, vcc, v22, v9, vcc
	global_load_dword v1, v[8:9], off
	s_waitcnt vmcnt(1)
	v_subrev_u32_e32 v10, s33, v12
	v_ashrrev_i32_e32 v11, 31, v10
	v_lshlrev_b64 v[10:11], 2, v[10:11]
	v_add_co_u32_e32 v16, vcc, s14, v10
	v_addc_co_u32_e32 v17, vcc, v23, v11, vcc
	v_add_co_u32_e32 v28, vcc, s10, v10
	v_addc_co_u32_e32 v29, vcc, v24, v11, vcc
	v_add_co_u32_e32 v10, vcc, s12, v10
	v_addc_co_u32_e32 v11, vcc, v25, v11, vcc
	global_load_dword v13, v[16:17], off
	global_load_dword v14, v[28:29], off
	global_load_dword v15, v[10:11], off glc
	s_waitcnt vmcnt(0)
	v_cmp_eq_u32_e32 vcc, 0, v15
	s_and_saveexec_b64 s[4:5], vcc
	s_cbranch_execz .LBB12_8
; %bb.6:                                ;   in Loop: Header=BB12_5 Depth=1
	s_mov_b64 s[26:27], 0
.LBB12_7:                               ;   Parent Loop BB12_5 Depth=1
                                        ; =>  This Inner Loop Header: Depth=2
	global_load_dword v15, v[10:11], off glc
	s_waitcnt vmcnt(0)
	v_cmp_ne_u32_e32 vcc, 0, v15
	s_or_b64 s[26:27], vcc, s[26:27]
	s_andn2_b64 exec, exec, s[26:27]
	s_cbranch_execnz .LBB12_7
.LBB12_8:                               ;   in Loop: Header=BB12_5 Depth=1
	s_or_b64 exec, exec, s[4:5]
	v_cmp_eq_u32_e32 vcc, -1, v14
	v_cndmask_b32_e32 v10, v14, v19, vcc
	v_ashrrev_i32_e32 v11, 31, v10
	v_lshlrev_b64 v[14:15], 2, v[10:11]
	v_add_co_u32_e32 v14, vcc, s8, v14
	v_addc_co_u32_e32 v15, vcc, v22, v15, vcc
	buffer_wbinvl1_vol
	global_load_dword v11, v[14:15], off
	s_waitcnt vmcnt(0)
	v_cmp_neq_f32_e64 s[4:5], 0, v11
	v_cmp_eq_f32_e32 vcc, 0, v11
	s_and_saveexec_b64 s[26:27], vcc
	s_xor_b64 s[26:27], exec, s[26:27]
	s_cbranch_execz .LBB12_15
; %bb.9:                                ;   in Loop: Header=BB12_5 Depth=1
	s_and_saveexec_b64 s[28:29], s[0:1]
	s_cbranch_execz .LBB12_14
; %bb.10:                               ;   in Loop: Header=BB12_5 Depth=1
	s_mov_b64 s[30:31], exec
	s_brev_b32 s11, -2
.LBB12_11:                              ;   Parent Loop BB12_5 Depth=1
                                        ; =>  This Inner Loop Header: Depth=2
	s_ff1_i32_b64 s15, s[30:31]
	v_readlane_b32 s36, v12, s15
	s_lshl_b64 s[34:35], 1, s15
	s_min_i32 s11, s11, s36
	s_andn2_b64 s[30:31], s[30:31], s[34:35]
	s_cmp_lg_u64 s[30:31], 0
	s_cbranch_scc1 .LBB12_11
; %bb.12:                               ;   in Loop: Header=BB12_5 Depth=1
	v_mbcnt_lo_u32_b32 v1, exec_lo, 0
	v_mbcnt_hi_u32_b32 v1, exec_hi, v1
	v_cmp_eq_u32_e32 vcc, 0, v1
	s_and_saveexec_b64 s[30:31], vcc
	s_xor_b64 s[30:31], exec, s[30:31]
	s_cbranch_execz .LBB12_14
; %bb.13:                               ;   in Loop: Header=BB12_5 Depth=1
	v_mov_b32_e32 v1, s11
	global_atomic_smin v21, v1, s[16:17]
.LBB12_14:                              ;   in Loop: Header=BB12_5 Depth=1
	s_or_b64 exec, exec, s[28:29]
                                        ; implicit-def: $vgpr11
                                        ; implicit-def: $vgpr1
                                        ; implicit-def: $vgpr8_vgpr9
                                        ; implicit-def: $vgpr13
                                        ; implicit-def: $vgpr10
                                        ; implicit-def: $vgpr12
.LBB12_15:                              ;   in Loop: Header=BB12_5 Depth=1
	s_andn2_saveexec_b64 s[26:27], s[26:27]
	s_cbranch_execz .LBB12_4
; %bb.16:                               ;   in Loop: Header=BB12_5 Depth=1
	v_cvt_f64_f32_e32 v[14:15], v11
	v_cmp_ge_f64_e32 vcc, s[6:7], v[14:15]
	s_and_b64 s[30:31], s[0:1], vcc
	s_and_saveexec_b64 s[28:29], s[30:31]
	s_cbranch_execz .LBB12_21
; %bb.17:                               ;   in Loop: Header=BB12_5 Depth=1
	s_mov_b64 s[30:31], exec
	s_brev_b32 s11, -2
.LBB12_18:                              ;   Parent Loop BB12_5 Depth=1
                                        ; =>  This Inner Loop Header: Depth=2
	s_ff1_i32_b64 s15, s[30:31]
	v_readlane_b32 s36, v12, s15
	s_lshl_b64 s[34:35], 1, s15
	s_min_i32 s11, s11, s36
	s_andn2_b64 s[30:31], s[30:31], s[34:35]
	s_cmp_lg_u64 s[30:31], 0
	s_cbranch_scc1 .LBB12_18
; %bb.19:                               ;   in Loop: Header=BB12_5 Depth=1
	v_mbcnt_lo_u32_b32 v12, exec_lo, 0
	v_mbcnt_hi_u32_b32 v12, exec_hi, v12
	v_cmp_eq_u32_e32 vcc, 0, v12
	s_and_saveexec_b64 s[30:31], vcc
	s_xor_b64 s[30:31], exec, s[30:31]
	s_cbranch_execz .LBB12_21
; %bb.20:                               ;   in Loop: Header=BB12_5 Depth=1
	v_mov_b32_e32 v12, s11
	global_atomic_smin v21, v12, s[18:19]
.LBB12_21:                              ;   in Loop: Header=BB12_5 Depth=1
	s_or_b64 exec, exec, s[28:29]
	v_add_u32_e32 v12, v20, v13
	v_cmp_lt_i32_e32 vcc, v12, v10
	v_mov_b32_e32 v28, 0
	s_and_saveexec_b64 s[28:29], vcc
	s_cbranch_execz .LBB12_31
; %bb.22:                               ;   in Loop: Header=BB12_5 Depth=1
	s_mov_b64 s[30:31], 0
	v_mov_b32_e32 v28, 0
	v_mov_b32_e32 v29, v18
	s_branch .LBB12_24
.LBB12_23:                              ;   in Loop: Header=BB12_24 Depth=2
	s_or_b64 exec, exec, s[34:35]
	v_add_u32_e32 v12, 64, v12
	v_cmp_ge_i32_e32 vcc, v12, v10
	s_or_b64 s[30:31], vcc, s[30:31]
	s_andn2_b64 exec, exec, s[30:31]
	s_cbranch_execz .LBB12_30
.LBB12_24:                              ;   Parent Loop BB12_5 Depth=1
                                        ; =>  This Loop Header: Depth=2
                                        ;       Child Loop BB12_26 Depth 3
	v_add_u32_e32 v16, v29, v27
	v_ashrrev_i32_e32 v13, 31, v12
	v_lshlrev_b64 v[14:15], 2, v[12:13]
	v_ashrrev_i32_e32 v16, 1, v16
	v_add_co_u32_e32 v32, vcc, s22, v14
	v_ashrrev_i32_e32 v17, 31, v16
	v_addc_co_u32_e32 v33, vcc, v26, v15, vcc
	v_lshlrev_b64 v[30:31], 2, v[16:17]
	v_add_co_u32_e32 v34, vcc, s22, v30
	v_addc_co_u32_e32 v35, vcc, v26, v31, vcc
	global_load_dword v13, v[32:33], off
	global_load_dword v30, v[34:35], off
	v_cmp_lt_i32_e32 vcc, v29, v27
	s_and_saveexec_b64 s[34:35], vcc
	s_cbranch_execz .LBB12_28
; %bb.25:                               ;   in Loop: Header=BB12_24 Depth=2
	s_mov_b64 s[36:37], 0
	v_mov_b32_e32 v31, v27
.LBB12_26:                              ;   Parent Loop BB12_5 Depth=1
                                        ;     Parent Loop BB12_24 Depth=2
                                        ; =>    This Inner Loop Header: Depth=3
	v_add_u32_e32 v17, 1, v16
	s_waitcnt vmcnt(0)
	v_cmp_lt_i32_e32 vcc, v30, v13
	v_cndmask_b32_e32 v29, v29, v17, vcc
	v_cndmask_b32_e32 v31, v16, v31, vcc
	v_add_u32_e32 v16, v31, v29
	v_ashrrev_i32_e32 v16, 1, v16
	v_ashrrev_i32_e32 v17, 31, v16
	v_lshlrev_b64 v[32:33], 2, v[16:17]
	v_mov_b32_e32 v30, s23
	v_add_co_u32_e32 v32, vcc, s22, v32
	v_addc_co_u32_e32 v33, vcc, v30, v33, vcc
	global_load_dword v30, v[32:33], off
	v_cmp_ge_i32_e32 vcc, v29, v31
	s_or_b64 s[36:37], vcc, s[36:37]
	s_andn2_b64 exec, exec, s[36:37]
	s_cbranch_execnz .LBB12_26
; %bb.27:                               ;   in Loop: Header=BB12_24 Depth=2
	s_or_b64 exec, exec, s[36:37]
.LBB12_28:                              ;   in Loop: Header=BB12_24 Depth=2
	s_or_b64 exec, exec, s[34:35]
	s_waitcnt vmcnt(0)
	v_cmp_eq_u32_e32 vcc, v30, v13
	s_and_saveexec_b64 s[34:35], vcc
	s_cbranch_execz .LBB12_23
; %bb.29:                               ;   in Loop: Header=BB12_24 Depth=2
	v_lshlrev_b64 v[16:17], 2, v[16:17]
	v_mov_b32_e32 v13, s9
	v_add_co_u32_e32 v16, vcc, s8, v16
	v_addc_co_u32_e32 v17, vcc, v13, v17, vcc
	v_add_co_u32_e32 v14, vcc, s8, v14
	v_addc_co_u32_e32 v15, vcc, v13, v15, vcc
	global_load_dword v13, v[14:15], off
	global_load_dword v30, v[16:17], off
	s_waitcnt vmcnt(0)
	v_fmac_f32_e32 v28, v13, v30
	s_branch .LBB12_23
.LBB12_30:                              ;   in Loop: Header=BB12_5 Depth=1
	s_or_b64 exec, exec, s[30:31]
.LBB12_31:                              ;   in Loop: Header=BB12_5 Depth=1
	s_or_b64 exec, exec, s[28:29]
	v_mov_b32_dpp v10, v28 row_shr:1 row_mask:0xf bank_mask:0xf
	v_add_f32_e32 v10, v28, v10
	s_nop 1
	v_mov_b32_dpp v12, v10 row_shr:2 row_mask:0xf bank_mask:0xf
	v_add_f32_e32 v10, v10, v12
	s_nop 1
	;; [unrolled: 3-line block ×4, first 2 shown]
	v_mov_b32_dpp v12, v10 row_bcast:15 row_mask:0xa bank_mask:0xf
	v_add_f32_e32 v10, v10, v12
	s_nop 1
	v_mov_b32_dpp v12, v10 row_bcast:31 row_mask:0xc bank_mask:0xf
	s_and_saveexec_b64 s[28:29], s[2:3]
	s_cbranch_execz .LBB12_3
; %bb.32:                               ;   in Loop: Header=BB12_5 Depth=1
	v_div_scale_f32 v13, s[30:31], v11, v11, 1.0
	v_rcp_f32_e32 v14, v13
	v_div_scale_f32 v15, vcc, 1.0, v11, 1.0
	v_add_f32_e32 v10, v10, v12
	v_fma_f32 v16, -v13, v14, 1.0
	v_fmac_f32_e32 v14, v16, v14
	v_mul_f32_e32 v16, v15, v14
	v_fma_f32 v17, -v13, v16, v15
	v_fmac_f32_e32 v16, v17, v14
	v_fma_f32 v13, -v13, v16, v15
	v_div_fmas_f32 v13, v13, v14, v16
	v_div_fixup_f32 v11, v13, v11, 1.0
	v_sub_f32_e32 v1, v1, v10
	v_mul_f32_e32 v1, v11, v1
	v_fmac_f32_e32 v5, v1, v1
	global_store_dword v[8:9], v1, off
	s_branch .LBB12_3
.LBB12_33:
	s_or_b64 exec, exec, s[24:25]
.LBB12_34:
	s_or_b64 exec, exec, s[20:21]
	v_cmp_eq_u32_e32 vcc, 63, v7
	v_cmp_lt_i32_e64 s[0:1], -1, v6
	s_and_b64 s[0:1], vcc, s[0:1]
	s_and_saveexec_b64 s[4:5], s[0:1]
	s_cbranch_execz .LBB12_45
; %bb.35:
	v_mov_b32_e32 v7, 0
	v_lshlrev_b64 v[0:1], 2, v[6:7]
	v_mov_b32_e32 v6, s9
	v_add_co_u32_e64 v0, s[0:1], s8, v0
	v_addc_co_u32_e64 v1, s[0:1], v6, v1, s[0:1]
	global_load_dword v8, v[0:1], off
	v_mul_f64 v[6:7], s[6:7], s[6:7]
	v_add_u32_e32 v4, s33, v4
	s_waitcnt vmcnt(0)
	v_sub_f32_e32 v5, v8, v5
	v_cvt_f64_f32_e32 v[8:9], v5
	v_cmp_ge_f64_e64 s[0:1], v[6:7], v[8:9]
	s_and_saveexec_b64 s[2:3], s[0:1]
	s_cbranch_execz .LBB12_40
; %bb.36:
	s_mov_b64 s[0:1], exec
	s_brev_b32 s6, -2
.LBB12_37:                              ; =>This Inner Loop Header: Depth=1
	s_ff1_i32_b64 s7, s[0:1]
	v_readlane_b32 s10, v4, s7
	s_lshl_b64 s[8:9], 1, s7
	s_min_i32 s6, s6, s10
	s_andn2_b64 s[0:1], s[0:1], s[8:9]
	s_cmp_lg_u64 s[0:1], 0
	s_cbranch_scc1 .LBB12_37
; %bb.38:
	v_mbcnt_lo_u32_b32 v6, exec_lo, 0
	v_mbcnt_hi_u32_b32 v6, exec_hi, v6
	v_cmp_eq_u32_e64 s[0:1], 0, v6
	s_and_saveexec_b64 s[8:9], s[0:1]
	s_xor_b64 s[8:9], exec, s[8:9]
	s_cbranch_execz .LBB12_40
; %bb.39:
	v_mov_b32_e32 v6, 0
	v_mov_b32_e32 v7, s6
	global_atomic_smin v6, v7, s[18:19]
.LBB12_40:
	s_or_b64 exec, exec, s[2:3]
	v_cmp_gt_f32_e64 s[0:1], 0, v5
	v_cndmask_b32_e64 v5, v5, -v5, s[0:1]
	s_mov_b32 s0, 0xf800000
	v_mul_f32_e32 v6, 0x4f800000, v5
	v_cmp_gt_f32_e64 s[0:1], s0, v5
	v_cndmask_b32_e64 v5, v5, v6, s[0:1]
	v_sqrt_f32_e32 v6, v5
	v_add_u32_e32 v7, -1, v6
	v_fma_f32 v8, -v7, v6, v5
	v_cmp_ge_f32_e64 s[2:3], 0, v8
	v_add_u32_e32 v8, 1, v6
	v_cndmask_b32_e64 v7, v6, v7, s[2:3]
	v_fma_f32 v6, -v8, v6, v5
	v_cmp_lt_f32_e64 s[2:3], 0, v6
	v_cndmask_b32_e64 v6, v7, v8, s[2:3]
	v_mul_f32_e32 v7, 0x37800000, v6
	v_cndmask_b32_e64 v6, v6, v7, s[0:1]
	v_mov_b32_e32 v7, 0x260
	v_cmp_class_f32_e64 s[0:1], v5, v7
	v_cndmask_b32_e64 v5, v6, v5, s[0:1]
	v_cmp_eq_f32_e64 s[0:1], 0, v5
	global_store_dword v[0:1], v5, off
	s_and_b64 exec, exec, s[0:1]
	s_cbranch_execz .LBB12_45
; %bb.41:
	s_mov_b64 s[0:1], exec
	s_brev_b32 s2, -2
.LBB12_42:                              ; =>This Inner Loop Header: Depth=1
	s_ff1_i32_b64 s3, s[0:1]
	v_readlane_b32 s8, v4, s3
	s_lshl_b64 s[6:7], 1, s3
	s_min_i32 s2, s2, s8
	s_andn2_b64 s[0:1], s[0:1], s[6:7]
	s_cmp_lg_u64 s[0:1], 0
	s_cbranch_scc1 .LBB12_42
; %bb.43:
	v_mbcnt_lo_u32_b32 v0, exec_lo, 0
	v_mbcnt_hi_u32_b32 v0, exec_hi, v0
	v_cmp_eq_u32_e64 s[0:1], 0, v0
	s_and_saveexec_b64 s[6:7], s[0:1]
	s_xor_b64 s[6:7], exec, s[6:7]
	s_cbranch_execz .LBB12_45
; %bb.44:
	v_mov_b32_e32 v0, 0
	v_mov_b32_e32 v1, s2
	global_atomic_smin v0, v1, s[16:17]
.LBB12_45:
	s_or_b64 exec, exec, s[4:5]
	s_and_b64 exec, exec, vcc
	s_cbranch_execz .LBB12_47
; %bb.46:
	v_mov_b32_e32 v1, s13
	v_add_co_u32_e32 v0, vcc, s12, v2
	v_addc_co_u32_e32 v1, vcc, v1, v3, vcc
	v_mov_b32_e32 v2, 1
	s_waitcnt vmcnt(0)
	global_store_dword v[0:1], v2, off
.LBB12_47:
	s_endpgm
	.section	.rodata,"a",@progbits
	.p2align	6, 0x0
	.amdhsa_kernel _ZN9rocsparseL23csric0_binsearch_kernelILj256ELj64ELb0EfEEviPKiS2_PT2_S2_PiS2_S5_S5_d21rocsparse_index_base_
		.amdhsa_group_segment_fixed_size 0
		.amdhsa_private_segment_fixed_size 0
		.amdhsa_kernarg_size 84
		.amdhsa_user_sgpr_count 6
		.amdhsa_user_sgpr_private_segment_buffer 1
		.amdhsa_user_sgpr_dispatch_ptr 0
		.amdhsa_user_sgpr_queue_ptr 0
		.amdhsa_user_sgpr_kernarg_segment_ptr 1
		.amdhsa_user_sgpr_dispatch_id 0
		.amdhsa_user_sgpr_flat_scratch_init 0
		.amdhsa_user_sgpr_kernarg_preload_length 0
		.amdhsa_user_sgpr_kernarg_preload_offset 0
		.amdhsa_user_sgpr_private_segment_size 0
		.amdhsa_uses_dynamic_stack 0
		.amdhsa_system_sgpr_private_segment_wavefront_offset 0
		.amdhsa_system_sgpr_workgroup_id_x 1
		.amdhsa_system_sgpr_workgroup_id_y 0
		.amdhsa_system_sgpr_workgroup_id_z 0
		.amdhsa_system_sgpr_workgroup_info 0
		.amdhsa_system_vgpr_workitem_id 0
		.amdhsa_next_free_vgpr 36
		.amdhsa_next_free_sgpr 38
		.amdhsa_accum_offset 36
		.amdhsa_reserve_vcc 1
		.amdhsa_reserve_flat_scratch 0
		.amdhsa_float_round_mode_32 0
		.amdhsa_float_round_mode_16_64 0
		.amdhsa_float_denorm_mode_32 3
		.amdhsa_float_denorm_mode_16_64 3
		.amdhsa_dx10_clamp 1
		.amdhsa_ieee_mode 1
		.amdhsa_fp16_overflow 0
		.amdhsa_tg_split 0
		.amdhsa_exception_fp_ieee_invalid_op 0
		.amdhsa_exception_fp_denorm_src 0
		.amdhsa_exception_fp_ieee_div_zero 0
		.amdhsa_exception_fp_ieee_overflow 0
		.amdhsa_exception_fp_ieee_underflow 0
		.amdhsa_exception_fp_ieee_inexact 0
		.amdhsa_exception_int_div_zero 0
	.end_amdhsa_kernel
	.section	.text._ZN9rocsparseL23csric0_binsearch_kernelILj256ELj64ELb0EfEEviPKiS2_PT2_S2_PiS2_S5_S5_d21rocsparse_index_base_,"axG",@progbits,_ZN9rocsparseL23csric0_binsearch_kernelILj256ELj64ELb0EfEEviPKiS2_PT2_S2_PiS2_S5_S5_d21rocsparse_index_base_,comdat
.Lfunc_end12:
	.size	_ZN9rocsparseL23csric0_binsearch_kernelILj256ELj64ELb0EfEEviPKiS2_PT2_S2_PiS2_S5_S5_d21rocsparse_index_base_, .Lfunc_end12-_ZN9rocsparseL23csric0_binsearch_kernelILj256ELj64ELb0EfEEviPKiS2_PT2_S2_PiS2_S5_S5_d21rocsparse_index_base_
                                        ; -- End function
	.section	.AMDGPU.csdata,"",@progbits
; Kernel info:
; codeLenInByte = 1796
; NumSgprs: 42
; NumVgprs: 36
; NumAgprs: 0
; TotalNumVgprs: 36
; ScratchSize: 0
; MemoryBound: 0
; FloatMode: 240
; IeeeMode: 1
; LDSByteSize: 0 bytes/workgroup (compile time only)
; SGPRBlocks: 5
; VGPRBlocks: 4
; NumSGPRsForWavesPerEU: 42
; NumVGPRsForWavesPerEU: 36
; AccumOffset: 36
; Occupancy: 8
; WaveLimiterHint : 1
; COMPUTE_PGM_RSRC2:SCRATCH_EN: 0
; COMPUTE_PGM_RSRC2:USER_SGPR: 6
; COMPUTE_PGM_RSRC2:TRAP_HANDLER: 0
; COMPUTE_PGM_RSRC2:TGID_X_EN: 1
; COMPUTE_PGM_RSRC2:TGID_Y_EN: 0
; COMPUTE_PGM_RSRC2:TGID_Z_EN: 0
; COMPUTE_PGM_RSRC2:TIDIG_COMP_CNT: 0
; COMPUTE_PGM_RSRC3_GFX90A:ACCUM_OFFSET: 8
; COMPUTE_PGM_RSRC3_GFX90A:TG_SPLIT: 0
	.section	.text._ZN9rocsparseL23csric0_binsearch_kernelILj256ELj64ELb1EdEEviPKiS2_PT2_S2_PiS2_S5_S5_d21rocsparse_index_base_,"axG",@progbits,_ZN9rocsparseL23csric0_binsearch_kernelILj256ELj64ELb1EdEEviPKiS2_PT2_S2_PiS2_S5_S5_d21rocsparse_index_base_,comdat
	.globl	_ZN9rocsparseL23csric0_binsearch_kernelILj256ELj64ELb1EdEEviPKiS2_PT2_S2_PiS2_S5_S5_d21rocsparse_index_base_ ; -- Begin function _ZN9rocsparseL23csric0_binsearch_kernelILj256ELj64ELb1EdEEviPKiS2_PT2_S2_PiS2_S5_S5_d21rocsparse_index_base_
	.p2align	8
	.type	_ZN9rocsparseL23csric0_binsearch_kernelILj256ELj64ELb1EdEEviPKiS2_PT2_S2_PiS2_S5_S5_d21rocsparse_index_base_,@function
_ZN9rocsparseL23csric0_binsearch_kernelILj256ELj64ELb1EdEEviPKiS2_PT2_S2_PiS2_S5_S5_d21rocsparse_index_base_: ; @_ZN9rocsparseL23csric0_binsearch_kernelILj256ELj64ELb1EdEEviPKiS2_PT2_S2_PiS2_S5_S5_d21rocsparse_index_base_
; %bb.0:
	s_load_dword s0, s[4:5], 0x0
	s_lshl_b32 s1, s6, 2
	v_lshrrev_b32_e32 v1, 6, v0
	s_and_b32 s1, s1, 0x3fffffc
	v_or_b32_e32 v1, s1, v1
	s_waitcnt lgkmcnt(0)
	v_cmp_gt_i32_e32 vcc, s0, v1
	s_and_saveexec_b64 s[0:1], vcc
	s_cbranch_execz .LBB13_49
; %bb.1:
	s_load_dwordx8 s[8:15], s[4:5], 0x18
	v_lshlrev_b32_e32 v1, 2, v1
	s_waitcnt lgkmcnt(0)
	global_load_dword v4, v1, s[14:15]
	s_load_dwordx2 s[14:15], s[4:5], 0x8
	v_mov_b32_e32 v1, s11
	s_waitcnt lgkmcnt(0)
	v_mov_b32_e32 v6, s15
	s_waitcnt vmcnt(0)
	v_ashrrev_i32_e32 v5, 31, v4
	v_lshlrev_b64 v[2:3], 2, v[4:5]
	v_add_co_u32_e32 v10, vcc, s10, v2
	v_addc_co_u32_e32 v11, vcc, v1, v3, vcc
	v_add_co_u32_e32 v8, vcc, s14, v2
	v_addc_co_u32_e32 v9, vcc, v6, v3, vcc
	global_load_dword v1, v[8:9], off
	global_load_dword v6, v[10:11], off
	s_load_dword s33, s[4:5], 0x50
	s_load_dwordx4 s[16:19], s[4:5], 0x38
	s_load_dwordx2 s[6:7], s[4:5], 0x48
	v_and_b32_e32 v5, 63, v0
	s_waitcnt vmcnt(1) lgkmcnt(0)
	v_subrev_u32_e32 v7, s33, v1
	s_waitcnt vmcnt(0)
	v_cmp_lt_i32_e32 vcc, v7, v6
	v_pk_mov_b32 v[0:1], 0, 0
	s_and_saveexec_b64 s[20:21], vcc
	s_cbranch_execz .LBB13_36
; %bb.2:
	global_load_dword v8, v[8:9], off offset:4
	s_load_dwordx2 s[22:23], s[4:5], 0x10
	v_add_u32_e32 v24, -1, v6
	v_cmp_eq_u32_e64 s[0:1], 0, v5
	v_subrev_u32_e32 v25, s33, v5
	v_cmp_eq_u32_e64 s[2:3], 63, v5
	s_mov_b64 s[24:25], 0
	v_pk_mov_b32 v[0:1], 0, 0
	v_mov_b32_e32 v26, s9
	v_mov_b32_e32 v27, s15
	;; [unrolled: 1-line block ×5, first 2 shown]
	s_waitcnt lgkmcnt(0)
	v_mov_b32_e32 v31, s23
	s_waitcnt vmcnt(0)
	v_xad_u32 v32, s33, -1, v8
	v_mov_b32_e32 v8, v7
	s_branch .LBB13_5
.LBB13_3:                               ;   in Loop: Header=BB13_5 Depth=1
	s_or_b64 exec, exec, s[28:29]
.LBB13_4:                               ;   in Loop: Header=BB13_5 Depth=1
	s_or_b64 exec, exec, s[26:27]
	v_add_u32_e32 v8, 1, v8
	v_cmp_ge_i32_e32 vcc, v8, v6
	s_xor_b64 s[4:5], s[4:5], -1
	s_or_b64 s[4:5], s[4:5], vcc
	s_and_b64 s[4:5], exec, s[4:5]
	s_or_b64 s[24:25], s[4:5], s[24:25]
	s_andn2_b64 exec, exec, s[24:25]
	s_cbranch_execz .LBB13_35
.LBB13_5:                               ; =>This Loop Header: Depth=1
                                        ;     Child Loop BB13_8 Depth 2
                                        ;       Child Loop BB13_9 Depth 3
                                        ;     Child Loop BB13_13 Depth 2
                                        ;     Child Loop BB13_20 Depth 2
	;; [unrolled: 1-line block ×3, first 2 shown]
                                        ;       Child Loop BB13_28 Depth 3
	v_ashrrev_i32_e32 v9, 31, v8
	v_lshlrev_b64 v[10:11], 2, v[8:9]
	v_add_co_u32_e32 v10, vcc, s22, v10
	v_addc_co_u32_e32 v11, vcc, v31, v11, vcc
	global_load_dword v18, v[10:11], off
	v_lshlrev_b64 v[10:11], 3, v[8:9]
	v_add_co_u32_e32 v10, vcc, s8, v10
	v_addc_co_u32_e32 v11, vcc, v26, v11, vcc
	global_load_dwordx2 v[12:13], v[10:11], off
	s_waitcnt vmcnt(1)
	v_subrev_u32_e32 v14, s33, v18
	v_ashrrev_i32_e32 v15, 31, v14
	v_lshlrev_b64 v[14:15], 2, v[14:15]
	v_add_co_u32_e32 v20, vcc, s14, v14
	v_addc_co_u32_e32 v21, vcc, v27, v15, vcc
	v_add_co_u32_e32 v22, vcc, s10, v14
	v_addc_co_u32_e32 v23, vcc, v28, v15, vcc
	;; [unrolled: 2-line block ×3, first 2 shown]
	global_load_dword v9, v[20:21], off
	global_load_dword v16, v[22:23], off
	global_load_dword v17, v[14:15], off glc
	s_waitcnt vmcnt(0)
	v_cmp_eq_u32_e32 vcc, 0, v17
	s_and_saveexec_b64 s[4:5], vcc
	s_cbranch_execz .LBB13_10
; %bb.6:                                ;   in Loop: Header=BB13_5 Depth=1
	s_mov_b32 s11, 0
	s_mov_b64 s[26:27], 0
	s_branch .LBB13_8
.LBB13_7:                               ;   in Loop: Header=BB13_8 Depth=2
	global_load_dword v17, v[14:15], off glc
	s_cmpk_lt_u32 s11, 0xf43
	s_cselect_b64 s[28:29], -1, 0
	s_cmp_lg_u64 s[28:29], 0
	s_addc_u32 s11, s11, 0
	s_waitcnt vmcnt(0)
	v_cmp_ne_u32_e32 vcc, 0, v17
	s_or_b64 s[26:27], vcc, s[26:27]
	s_andn2_b64 exec, exec, s[26:27]
	s_cbranch_execz .LBB13_10
.LBB13_8:                               ;   Parent Loop BB13_5 Depth=1
                                        ; =>  This Loop Header: Depth=2
                                        ;       Child Loop BB13_9 Depth 3
	s_cmp_eq_u32 s11, 0
	s_mov_b32 s15, s11
	s_cbranch_scc1 .LBB13_7
.LBB13_9:                               ;   Parent Loop BB13_5 Depth=1
                                        ;     Parent Loop BB13_8 Depth=2
                                        ; =>    This Inner Loop Header: Depth=3
	s_add_i32 s15, s15, -1
	s_cmp_eq_u32 s15, 0
	s_sleep 1
	s_cbranch_scc0 .LBB13_9
	s_branch .LBB13_7
.LBB13_10:                              ;   in Loop: Header=BB13_5 Depth=1
	s_or_b64 exec, exec, s[4:5]
	v_cmp_eq_u32_e32 vcc, -1, v16
	v_cndmask_b32_e32 v16, v16, v24, vcc
	v_ashrrev_i32_e32 v17, 31, v16
	v_lshlrev_b64 v[14:15], 3, v[16:17]
	v_add_co_u32_e32 v14, vcc, s8, v14
	v_addc_co_u32_e32 v15, vcc, v26, v15, vcc
	buffer_wbinvl1_vol
	global_load_dwordx2 v[14:15], v[14:15], off
	s_waitcnt vmcnt(0)
	v_cmp_neq_f64_e64 s[4:5], 0, v[14:15]
	v_cmp_eq_f64_e32 vcc, 0, v[14:15]
	s_and_saveexec_b64 s[26:27], vcc
	s_xor_b64 s[26:27], exec, s[26:27]
	s_cbranch_execz .LBB13_17
; %bb.11:                               ;   in Loop: Header=BB13_5 Depth=1
	s_and_saveexec_b64 s[28:29], s[0:1]
	s_cbranch_execz .LBB13_16
; %bb.12:                               ;   in Loop: Header=BB13_5 Depth=1
	s_mov_b64 s[30:31], exec
	s_brev_b32 s11, -2
.LBB13_13:                              ;   Parent Loop BB13_5 Depth=1
                                        ; =>  This Inner Loop Header: Depth=2
	s_ff1_i32_b64 s15, s[30:31]
	v_readlane_b32 s36, v18, s15
	s_lshl_b64 s[34:35], 1, s15
	s_min_i32 s11, s11, s36
	s_andn2_b64 s[30:31], s[30:31], s[34:35]
	s_cmp_lg_u64 s[30:31], 0
	s_cbranch_scc1 .LBB13_13
; %bb.14:                               ;   in Loop: Header=BB13_5 Depth=1
	v_mbcnt_lo_u32_b32 v9, exec_lo, 0
	v_mbcnt_hi_u32_b32 v9, exec_hi, v9
	v_cmp_eq_u32_e32 vcc, 0, v9
	s_and_saveexec_b64 s[30:31], vcc
	s_xor_b64 s[30:31], exec, s[30:31]
	s_cbranch_execz .LBB13_16
; %bb.15:                               ;   in Loop: Header=BB13_5 Depth=1
	v_mov_b32_e32 v9, s11
	global_atomic_smin v30, v9, s[16:17]
.LBB13_16:                              ;   in Loop: Header=BB13_5 Depth=1
	s_or_b64 exec, exec, s[28:29]
                                        ; implicit-def: $vgpr14_vgpr15
                                        ; implicit-def: $vgpr12_vgpr13
                                        ; implicit-def: $vgpr10_vgpr11
                                        ; implicit-def: $vgpr9
                                        ; implicit-def: $vgpr16
                                        ; implicit-def: $vgpr18
.LBB13_17:                              ;   in Loop: Header=BB13_5 Depth=1
	s_andn2_saveexec_b64 s[26:27], s[26:27]
	s_cbranch_execz .LBB13_4
; %bb.18:                               ;   in Loop: Header=BB13_5 Depth=1
	v_cmp_ge_f64_e32 vcc, s[6:7], v[14:15]
	s_and_b64 s[30:31], s[0:1], vcc
	s_and_saveexec_b64 s[28:29], s[30:31]
	s_cbranch_execz .LBB13_23
; %bb.19:                               ;   in Loop: Header=BB13_5 Depth=1
	s_mov_b64 s[30:31], exec
	s_brev_b32 s11, -2
.LBB13_20:                              ;   Parent Loop BB13_5 Depth=1
                                        ; =>  This Inner Loop Header: Depth=2
	s_ff1_i32_b64 s15, s[30:31]
	v_readlane_b32 s36, v18, s15
	s_lshl_b64 s[34:35], 1, s15
	s_min_i32 s11, s11, s36
	s_andn2_b64 s[30:31], s[30:31], s[34:35]
	s_cmp_lg_u64 s[30:31], 0
	s_cbranch_scc1 .LBB13_20
; %bb.21:                               ;   in Loop: Header=BB13_5 Depth=1
	v_mbcnt_lo_u32_b32 v17, exec_lo, 0
	v_mbcnt_hi_u32_b32 v17, exec_hi, v17
	v_cmp_eq_u32_e32 vcc, 0, v17
	s_and_saveexec_b64 s[30:31], vcc
	s_xor_b64 s[30:31], exec, s[30:31]
	s_cbranch_execz .LBB13_23
; %bb.22:                               ;   in Loop: Header=BB13_5 Depth=1
	v_mov_b32_e32 v17, s11
	global_atomic_smin v30, v17, s[18:19]
.LBB13_23:                              ;   in Loop: Header=BB13_5 Depth=1
	s_or_b64 exec, exec, s[28:29]
	v_add_u32_e32 v20, v25, v9
	v_cmp_lt_i32_e32 vcc, v20, v16
	v_pk_mov_b32 v[18:19], 0, 0
	s_and_saveexec_b64 s[28:29], vcc
	s_cbranch_execz .LBB13_33
; %bb.24:                               ;   in Loop: Header=BB13_5 Depth=1
	s_mov_b64 s[30:31], 0
	v_pk_mov_b32 v[18:19], 0, 0
	v_mov_b32_e32 v9, v7
	s_branch .LBB13_26
.LBB13_25:                              ;   in Loop: Header=BB13_26 Depth=2
	s_or_b64 exec, exec, s[34:35]
	v_add_u32_e32 v20, 64, v20
	v_cmp_ge_i32_e32 vcc, v20, v16
	s_or_b64 s[30:31], vcc, s[30:31]
	s_andn2_b64 exec, exec, s[30:31]
	s_cbranch_execz .LBB13_32
.LBB13_26:                              ;   Parent Loop BB13_5 Depth=1
                                        ; =>  This Loop Header: Depth=2
                                        ;       Child Loop BB13_28 Depth 3
	v_ashrrev_i32_e32 v21, 31, v20
	v_add_u32_e32 v17, v9, v32
	v_lshlrev_b64 v[22:23], 2, v[20:21]
	v_mov_b32_e32 v33, s23
	v_add_co_u32_e32 v34, vcc, s22, v22
	v_ashrrev_i32_e32 v22, 1, v17
	v_addc_co_u32_e32 v35, vcc, v33, v23, vcc
	v_ashrrev_i32_e32 v23, 31, v22
	v_lshlrev_b64 v[36:37], 2, v[22:23]
	v_add_co_u32_e32 v36, vcc, s22, v36
	v_addc_co_u32_e32 v37, vcc, v33, v37, vcc
	global_load_dword v17, v[34:35], off
	global_load_dword v33, v[36:37], off
	v_cmp_lt_i32_e32 vcc, v9, v32
	s_and_saveexec_b64 s[34:35], vcc
	s_cbranch_execz .LBB13_30
; %bb.27:                               ;   in Loop: Header=BB13_26 Depth=2
	s_mov_b64 s[36:37], 0
	v_mov_b32_e32 v34, v32
.LBB13_28:                              ;   Parent Loop BB13_5 Depth=1
                                        ;     Parent Loop BB13_26 Depth=2
                                        ; =>    This Inner Loop Header: Depth=3
	v_add_u32_e32 v23, 1, v22
	s_waitcnt vmcnt(0)
	v_cmp_lt_i32_e32 vcc, v33, v17
	v_cndmask_b32_e32 v9, v9, v23, vcc
	v_cndmask_b32_e32 v34, v22, v34, vcc
	v_add_u32_e32 v22, v34, v9
	v_ashrrev_i32_e32 v22, 1, v22
	v_ashrrev_i32_e32 v23, 31, v22
	v_lshlrev_b64 v[36:37], 2, v[22:23]
	v_mov_b32_e32 v33, s23
	v_add_co_u32_e32 v36, vcc, s22, v36
	v_addc_co_u32_e32 v37, vcc, v33, v37, vcc
	global_load_dword v33, v[36:37], off
	v_cmp_ge_i32_e32 vcc, v9, v34
	s_or_b64 s[36:37], vcc, s[36:37]
	s_andn2_b64 exec, exec, s[36:37]
	s_cbranch_execnz .LBB13_28
; %bb.29:                               ;   in Loop: Header=BB13_26 Depth=2
	s_or_b64 exec, exec, s[36:37]
.LBB13_30:                              ;   in Loop: Header=BB13_26 Depth=2
	s_or_b64 exec, exec, s[34:35]
	s_waitcnt vmcnt(0)
	v_cmp_eq_u32_e32 vcc, v33, v17
	s_and_saveexec_b64 s[34:35], vcc
	s_cbranch_execz .LBB13_25
; %bb.31:                               ;   in Loop: Header=BB13_26 Depth=2
	v_lshlrev_b64 v[22:23], 3, v[22:23]
	v_mov_b32_e32 v17, s9
	v_add_co_u32_e32 v22, vcc, s8, v22
	v_addc_co_u32_e32 v23, vcc, v17, v23, vcc
	v_lshlrev_b64 v[34:35], 3, v[20:21]
	v_add_co_u32_e32 v34, vcc, s8, v34
	v_addc_co_u32_e32 v35, vcc, v17, v35, vcc
	global_load_dwordx2 v[36:37], v[34:35], off
	global_load_dwordx2 v[38:39], v[22:23], off
	s_waitcnt vmcnt(0)
	v_fmac_f64_e32 v[18:19], v[36:37], v[38:39]
	s_branch .LBB13_25
.LBB13_32:                              ;   in Loop: Header=BB13_5 Depth=1
	s_or_b64 exec, exec, s[30:31]
.LBB13_33:                              ;   in Loop: Header=BB13_5 Depth=1
	s_or_b64 exec, exec, s[28:29]
	v_mov_b32_dpp v16, v18 row_shr:1 row_mask:0xf bank_mask:0xf
	v_mov_b32_dpp v17, v19 row_shr:1 row_mask:0xf bank_mask:0xf
	v_add_f64 v[16:17], v[18:19], v[16:17]
	s_nop 1
	v_mov_b32_dpp v18, v16 row_shr:2 row_mask:0xf bank_mask:0xf
	v_mov_b32_dpp v19, v17 row_shr:2 row_mask:0xf bank_mask:0xf
	v_add_f64 v[16:17], v[16:17], v[18:19]
	s_nop 1
	;; [unrolled: 4-line block ×4, first 2 shown]
	v_mov_b32_dpp v18, v16 row_bcast:15 row_mask:0xa bank_mask:0xf
	v_mov_b32_dpp v19, v17 row_bcast:15 row_mask:0xa bank_mask:0xf
	v_add_f64 v[16:17], v[16:17], v[18:19]
	s_nop 1
	v_mov_b32_dpp v18, v16 row_bcast:31 row_mask:0xc bank_mask:0xf
	v_mov_b32_dpp v19, v17 row_bcast:31 row_mask:0xc bank_mask:0xf
	s_and_saveexec_b64 s[28:29], s[2:3]
	s_cbranch_execz .LBB13_3
; %bb.34:                               ;   in Loop: Header=BB13_5 Depth=1
	v_div_scale_f64 v[20:21], s[30:31], v[14:15], v[14:15], 1.0
	v_rcp_f64_e32 v[22:23], v[20:21]
	v_div_scale_f64 v[34:35], vcc, 1.0, v[14:15], 1.0
	v_add_f64 v[16:17], v[16:17], v[18:19]
	v_fma_f64 v[36:37], -v[20:21], v[22:23], 1.0
	v_fmac_f64_e32 v[22:23], v[22:23], v[36:37]
	v_fma_f64 v[36:37], -v[20:21], v[22:23], 1.0
	v_fmac_f64_e32 v[22:23], v[22:23], v[36:37]
	v_mul_f64 v[36:37], v[34:35], v[22:23]
	v_fma_f64 v[20:21], -v[20:21], v[36:37], v[34:35]
	v_div_fmas_f64 v[20:21], v[20:21], v[22:23], v[36:37]
	v_div_fixup_f64 v[14:15], v[20:21], v[14:15], 1.0
	v_add_f64 v[12:13], v[12:13], -v[16:17]
	v_mul_f64 v[12:13], v[14:15], v[12:13]
	v_fmac_f64_e32 v[0:1], v[12:13], v[12:13]
	global_store_dwordx2 v[10:11], v[12:13], off
	s_branch .LBB13_3
.LBB13_35:
	s_or_b64 exec, exec, s[24:25]
.LBB13_36:
	s_or_b64 exec, exec, s[20:21]
	v_cmp_eq_u32_e32 vcc, 63, v5
	v_cmp_lt_i32_e64 s[0:1], -1, v6
	s_and_b64 s[0:1], vcc, s[0:1]
	s_and_saveexec_b64 s[2:3], s[0:1]
	s_cbranch_execz .LBB13_47
; %bb.37:
	v_mov_b32_e32 v7, 0
	v_lshlrev_b64 v[6:7], 3, v[6:7]
	v_mov_b32_e32 v5, s9
	v_add_co_u32_e64 v6, s[0:1], s8, v6
	v_addc_co_u32_e64 v7, s[0:1], v5, v7, s[0:1]
	global_load_dwordx2 v[8:9], v[6:7], off
	v_mul_f64 v[10:11], s[6:7], s[6:7]
	s_waitcnt vmcnt(0)
	v_add_f64 v[0:1], v[8:9], -v[0:1]
	v_cmp_le_f64_e64 s[0:1], v[0:1], v[10:11]
	s_and_saveexec_b64 s[4:5], s[0:1]
	s_cbranch_execz .LBB13_42
; %bb.38:
	s_mov_b64 s[0:1], exec
	v_add_u32_e32 v5, s33, v4
	s_brev_b32 s6, -2
.LBB13_39:                              ; =>This Inner Loop Header: Depth=1
	s_ff1_i32_b64 s7, s[0:1]
	v_readlane_b32 s10, v5, s7
	s_lshl_b64 s[8:9], 1, s7
	s_min_i32 s6, s6, s10
	s_andn2_b64 s[0:1], s[0:1], s[8:9]
	s_cmp_lg_u64 s[0:1], 0
	s_cbranch_scc1 .LBB13_39
; %bb.40:
	v_mbcnt_lo_u32_b32 v5, exec_lo, 0
	v_mbcnt_hi_u32_b32 v5, exec_hi, v5
	v_cmp_eq_u32_e64 s[0:1], 0, v5
	s_and_saveexec_b64 s[8:9], s[0:1]
	s_xor_b64 s[8:9], exec, s[8:9]
	s_cbranch_execz .LBB13_42
; %bb.41:
	v_mov_b32_e32 v5, 0
	v_mov_b32_e32 v8, s6
	global_atomic_smin v5, v8, s[18:19]
.LBB13_42:
	s_or_b64 exec, exec, s[4:5]
	v_xor_b32_e32 v5, 0x80000000, v1
	v_cmp_gt_f64_e64 s[0:1], 0, v[0:1]
	v_cndmask_b32_e64 v1, v1, v5, s[0:1]
	v_cndmask_b32_e64 v0, v0, v0, s[0:1]
	s_mov_b32 s0, 0
	s_brev_b32 s1, 8
	v_cmp_gt_f64_e64 s[0:1], s[0:1], v[0:1]
	v_cndmask_b32_e64 v5, 0, 1, s[0:1]
	v_lshlrev_b32_e32 v5, 8, v5
	v_ldexp_f64 v[0:1], v[0:1], v5
	v_rsq_f64_e32 v[8:9], v[0:1]
	v_mov_b32_e32 v5, 0xffffff80
	v_cndmask_b32_e64 v5, 0, v5, s[0:1]
	v_mul_f64 v[10:11], v[0:1], v[8:9]
	v_mul_f64 v[8:9], v[8:9], 0.5
	v_fma_f64 v[12:13], -v[8:9], v[10:11], 0.5
	v_fmac_f64_e32 v[10:11], v[10:11], v[12:13]
	v_fma_f64 v[14:15], -v[10:11], v[10:11], v[0:1]
	v_fmac_f64_e32 v[8:9], v[8:9], v[12:13]
	v_fmac_f64_e32 v[10:11], v[14:15], v[8:9]
	v_fma_f64 v[12:13], -v[10:11], v[10:11], v[0:1]
	v_fmac_f64_e32 v[10:11], v[12:13], v[8:9]
	v_ldexp_f64 v[8:9], v[10:11], v5
	v_mov_b32_e32 v5, 0x260
	v_cmp_class_f64_e64 s[0:1], v[0:1], v5
	v_cndmask_b32_e64 v1, v9, v1, s[0:1]
	v_cndmask_b32_e64 v0, v8, v0, s[0:1]
	v_cmp_eq_f64_e64 s[0:1], 0, v[0:1]
	global_store_dwordx2 v[6:7], v[0:1], off
	s_and_b64 exec, exec, s[0:1]
	s_cbranch_execz .LBB13_47
; %bb.43:
	s_mov_b64 s[0:1], exec
	v_add_u32_e32 v0, s33, v4
	s_brev_b32 s4, -2
.LBB13_44:                              ; =>This Inner Loop Header: Depth=1
	s_ff1_i32_b64 s5, s[0:1]
	v_readlane_b32 s8, v0, s5
	s_lshl_b64 s[6:7], 1, s5
	s_min_i32 s4, s4, s8
	s_andn2_b64 s[0:1], s[0:1], s[6:7]
	s_cmp_lg_u64 s[0:1], 0
	s_cbranch_scc1 .LBB13_44
; %bb.45:
	v_mbcnt_lo_u32_b32 v0, exec_lo, 0
	v_mbcnt_hi_u32_b32 v0, exec_hi, v0
	v_cmp_eq_u32_e64 s[0:1], 0, v0
	s_and_saveexec_b64 s[6:7], s[0:1]
	s_xor_b64 s[6:7], exec, s[6:7]
	s_cbranch_execz .LBB13_47
; %bb.46:
	v_mov_b32_e32 v0, 0
	v_mov_b32_e32 v1, s4
	global_atomic_smin v0, v1, s[16:17]
.LBB13_47:
	s_or_b64 exec, exec, s[2:3]
	s_and_b64 exec, exec, vcc
	s_cbranch_execz .LBB13_49
; %bb.48:
	v_mov_b32_e32 v1, s13
	v_add_co_u32_e32 v0, vcc, s12, v2
	v_addc_co_u32_e32 v1, vcc, v1, v3, vcc
	v_mov_b32_e32 v2, 1
	s_waitcnt vmcnt(0)
	global_store_dword v[0:1], v2, off
.LBB13_49:
	s_endpgm
	.section	.rodata,"a",@progbits
	.p2align	6, 0x0
	.amdhsa_kernel _ZN9rocsparseL23csric0_binsearch_kernelILj256ELj64ELb1EdEEviPKiS2_PT2_S2_PiS2_S5_S5_d21rocsparse_index_base_
		.amdhsa_group_segment_fixed_size 0
		.amdhsa_private_segment_fixed_size 0
		.amdhsa_kernarg_size 84
		.amdhsa_user_sgpr_count 6
		.amdhsa_user_sgpr_private_segment_buffer 1
		.amdhsa_user_sgpr_dispatch_ptr 0
		.amdhsa_user_sgpr_queue_ptr 0
		.amdhsa_user_sgpr_kernarg_segment_ptr 1
		.amdhsa_user_sgpr_dispatch_id 0
		.amdhsa_user_sgpr_flat_scratch_init 0
		.amdhsa_user_sgpr_kernarg_preload_length 0
		.amdhsa_user_sgpr_kernarg_preload_offset 0
		.amdhsa_user_sgpr_private_segment_size 0
		.amdhsa_uses_dynamic_stack 0
		.amdhsa_system_sgpr_private_segment_wavefront_offset 0
		.amdhsa_system_sgpr_workgroup_id_x 1
		.amdhsa_system_sgpr_workgroup_id_y 0
		.amdhsa_system_sgpr_workgroup_id_z 0
		.amdhsa_system_sgpr_workgroup_info 0
		.amdhsa_system_vgpr_workitem_id 0
		.amdhsa_next_free_vgpr 40
		.amdhsa_next_free_sgpr 38
		.amdhsa_accum_offset 40
		.amdhsa_reserve_vcc 1
		.amdhsa_reserve_flat_scratch 0
		.amdhsa_float_round_mode_32 0
		.amdhsa_float_round_mode_16_64 0
		.amdhsa_float_denorm_mode_32 3
		.amdhsa_float_denorm_mode_16_64 3
		.amdhsa_dx10_clamp 1
		.amdhsa_ieee_mode 1
		.amdhsa_fp16_overflow 0
		.amdhsa_tg_split 0
		.amdhsa_exception_fp_ieee_invalid_op 0
		.amdhsa_exception_fp_denorm_src 0
		.amdhsa_exception_fp_ieee_div_zero 0
		.amdhsa_exception_fp_ieee_overflow 0
		.amdhsa_exception_fp_ieee_underflow 0
		.amdhsa_exception_fp_ieee_inexact 0
		.amdhsa_exception_int_div_zero 0
	.end_amdhsa_kernel
	.section	.text._ZN9rocsparseL23csric0_binsearch_kernelILj256ELj64ELb1EdEEviPKiS2_PT2_S2_PiS2_S5_S5_d21rocsparse_index_base_,"axG",@progbits,_ZN9rocsparseL23csric0_binsearch_kernelILj256ELj64ELb1EdEEviPKiS2_PT2_S2_PiS2_S5_S5_d21rocsparse_index_base_,comdat
.Lfunc_end13:
	.size	_ZN9rocsparseL23csric0_binsearch_kernelILj256ELj64ELb1EdEEviPKiS2_PT2_S2_PiS2_S5_S5_d21rocsparse_index_base_, .Lfunc_end13-_ZN9rocsparseL23csric0_binsearch_kernelILj256ELj64ELb1EdEEviPKiS2_PT2_S2_PiS2_S5_S5_d21rocsparse_index_base_
                                        ; -- End function
	.section	.AMDGPU.csdata,"",@progbits
; Kernel info:
; codeLenInByte = 2008
; NumSgprs: 42
; NumVgprs: 40
; NumAgprs: 0
; TotalNumVgprs: 40
; ScratchSize: 0
; MemoryBound: 1
; FloatMode: 240
; IeeeMode: 1
; LDSByteSize: 0 bytes/workgroup (compile time only)
; SGPRBlocks: 5
; VGPRBlocks: 4
; NumSGPRsForWavesPerEU: 42
; NumVGPRsForWavesPerEU: 40
; AccumOffset: 40
; Occupancy: 8
; WaveLimiterHint : 1
; COMPUTE_PGM_RSRC2:SCRATCH_EN: 0
; COMPUTE_PGM_RSRC2:USER_SGPR: 6
; COMPUTE_PGM_RSRC2:TRAP_HANDLER: 0
; COMPUTE_PGM_RSRC2:TGID_X_EN: 1
; COMPUTE_PGM_RSRC2:TGID_Y_EN: 0
; COMPUTE_PGM_RSRC2:TGID_Z_EN: 0
; COMPUTE_PGM_RSRC2:TIDIG_COMP_CNT: 0
; COMPUTE_PGM_RSRC3_GFX90A:ACCUM_OFFSET: 9
; COMPUTE_PGM_RSRC3_GFX90A:TG_SPLIT: 0
	.section	.text._ZN9rocsparseL18csric0_hash_kernelILj256ELj32ELj1EdEEviPKiS2_PT2_S2_PiS2_S5_S5_d21rocsparse_index_base_,"axG",@progbits,_ZN9rocsparseL18csric0_hash_kernelILj256ELj32ELj1EdEEviPKiS2_PT2_S2_PiS2_S5_S5_d21rocsparse_index_base_,comdat
	.globl	_ZN9rocsparseL18csric0_hash_kernelILj256ELj32ELj1EdEEviPKiS2_PT2_S2_PiS2_S5_S5_d21rocsparse_index_base_ ; -- Begin function _ZN9rocsparseL18csric0_hash_kernelILj256ELj32ELj1EdEEviPKiS2_PT2_S2_PiS2_S5_S5_d21rocsparse_index_base_
	.p2align	8
	.type	_ZN9rocsparseL18csric0_hash_kernelILj256ELj32ELj1EdEEviPKiS2_PT2_S2_PiS2_S5_S5_d21rocsparse_index_base_,@function
_ZN9rocsparseL18csric0_hash_kernelILj256ELj32ELj1EdEEviPKiS2_PT2_S2_PiS2_S5_S5_d21rocsparse_index_base_: ; @_ZN9rocsparseL18csric0_hash_kernelILj256ELj32ELj1EdEEviPKiS2_PT2_S2_PiS2_S5_S5_d21rocsparse_index_base_
; %bb.0:
	s_load_dword s0, s[4:5], 0x0
	s_lshl_b32 s1, s6, 3
	v_and_b32_e32 v5, 31, v0
	v_and_b32_e32 v6, 0xe0, v0
	v_mov_b32_e32 v1, 0x400
	v_lshrrev_b32_e32 v0, 5, v0
	s_and_b32 s1, s1, 0x7fffff8
	v_lshl_or_b32 v22, v6, 2, v1
	v_or_b32_e32 v0, s1, v0
	v_lshl_or_b32 v1, v5, 2, v22
	v_mov_b32_e32 v2, -1
	s_waitcnt lgkmcnt(0)
	v_cmp_gt_i32_e32 vcc, s0, v0
	ds_write_b32 v1, v2
	s_waitcnt lgkmcnt(0)
	s_and_saveexec_b64 s[0:1], vcc
	s_cbranch_execz .LBB14_46
; %bb.1:
	s_load_dwordx8 s[8:15], s[4:5], 0x28
	v_lshlrev_b32_e32 v0, 2, v0
	s_load_dwordx8 s[16:23], s[4:5], 0x8
	s_load_dword s33, s[4:5], 0x50
	s_waitcnt lgkmcnt(0)
	global_load_dword v2, v0, s[10:11]
	v_mov_b32_e32 v7, s17
	v_mov_b32_e32 v4, s23
	s_waitcnt vmcnt(0)
	v_ashrrev_i32_e32 v3, 31, v2
	v_lshlrev_b64 v[0:1], 2, v[2:3]
	v_add_co_u32_e32 v8, vcc, s16, v0
	v_addc_co_u32_e32 v9, vcc, v7, v1, vcc
	global_load_dwordx2 v[8:9], v[8:9], off
	v_add_co_u32_e32 v10, vcc, s22, v0
	v_addc_co_u32_e32 v11, vcc, v4, v1, vcc
	global_load_dword v4, v[10:11], off
	v_lshlrev_b32_e32 v3, 2, v6
	s_waitcnt vmcnt(1)
	v_subrev_u32_e32 v6, s33, v8
	v_subrev_u32_e32 v7, s33, v9
	v_add_u32_e32 v8, v6, v5
	v_cmp_lt_i32_e32 vcc, v8, v7
	s_and_saveexec_b64 s[0:1], vcc
	s_cbranch_execz .LBB14_11
; %bb.2:
	s_mov_b64 s[2:3], 0
	v_mov_b32_e32 v10, s19
	v_mov_b32_e32 v11, -1
	s_branch .LBB14_4
.LBB14_3:                               ;   in Loop: Header=BB14_4 Depth=1
	s_or_b64 exec, exec, s[6:7]
	v_add_u32_e32 v8, 32, v8
	v_cmp_ge_i32_e32 vcc, v8, v7
	s_or_b64 s[2:3], vcc, s[2:3]
	s_andn2_b64 exec, exec, s[2:3]
	s_cbranch_execz .LBB14_11
.LBB14_4:                               ; =>This Loop Header: Depth=1
                                        ;     Child Loop BB14_7 Depth 2
	v_ashrrev_i32_e32 v9, 31, v8
	v_lshlrev_b64 v[12:13], 2, v[8:9]
	v_add_co_u32_e32 v12, vcc, s18, v12
	v_addc_co_u32_e32 v13, vcc, v10, v13, vcc
	global_load_dword v9, v[12:13], off
	s_waitcnt vmcnt(0)
	v_mul_lo_u32 v12, v9, 7
	v_and_b32_e32 v12, 31, v12
	v_lshl_add_u32 v13, v12, 2, v22
	ds_read_b32 v14, v13
	s_waitcnt lgkmcnt(0)
	v_cmp_ne_u32_e32 vcc, v14, v9
	s_and_saveexec_b64 s[6:7], vcc
	s_cbranch_execz .LBB14_3
; %bb.5:                                ;   in Loop: Header=BB14_4 Depth=1
	s_mov_b64 s[10:11], 0
                                        ; implicit-def: $sgpr24_sgpr25
                                        ; implicit-def: $sgpr28_sgpr29
                                        ; implicit-def: $sgpr26_sgpr27
	s_branch .LBB14_7
.LBB14_6:                               ;   in Loop: Header=BB14_7 Depth=2
	s_or_b64 exec, exec, s[30:31]
	s_and_b64 s[30:31], exec, s[28:29]
	s_or_b64 s[10:11], s[30:31], s[10:11]
	s_andn2_b64 s[24:25], s[24:25], exec
	s_and_b64 s[30:31], s[26:27], exec
	s_or_b64 s[24:25], s[24:25], s[30:31]
	s_andn2_b64 exec, exec, s[10:11]
	s_cbranch_execz .LBB14_9
.LBB14_7:                               ;   Parent Loop BB14_4 Depth=1
                                        ; =>  This Inner Loop Header: Depth=2
	ds_cmpst_rtn_b32 v13, v13, v11, v9
	v_mov_b32_e32 v14, v12
	s_or_b64 s[26:27], s[26:27], exec
	s_or_b64 s[28:29], s[28:29], exec
                                        ; implicit-def: $vgpr12
	s_waitcnt lgkmcnt(0)
	v_cmp_ne_u32_e32 vcc, -1, v13
                                        ; implicit-def: $vgpr13
	s_and_saveexec_b64 s[30:31], vcc
	s_cbranch_execz .LBB14_6
; %bb.8:                                ;   in Loop: Header=BB14_7 Depth=2
	v_add_u32_e32 v12, 1, v14
	v_and_b32_e32 v12, 31, v12
	v_lshl_add_u32 v13, v12, 2, v22
	ds_read_b32 v15, v13
	s_andn2_b64 s[28:29], s[28:29], exec
	s_andn2_b64 s[26:27], s[26:27], exec
	s_waitcnt lgkmcnt(0)
	v_cmp_eq_u32_e32 vcc, v15, v9
	s_and_b64 s[34:35], vcc, exec
	s_or_b64 s[28:29], s[28:29], s[34:35]
	s_branch .LBB14_6
.LBB14_9:                               ;   in Loop: Header=BB14_4 Depth=1
	s_or_b64 exec, exec, s[10:11]
	s_and_saveexec_b64 s[10:11], s[24:25]
	s_xor_b64 s[10:11], exec, s[10:11]
	s_cbranch_execz .LBB14_3
; %bb.10:                               ;   in Loop: Header=BB14_4 Depth=1
	v_lshl_add_u32 v9, v14, 2, v3
	ds_write_b32 v9, v8
	s_branch .LBB14_3
.LBB14_11:
	s_or_b64 exec, exec, s[0:1]
	s_waitcnt vmcnt(0)
	v_cmp_lt_i32_e32 vcc, v6, v4
	v_pk_mov_b32 v[8:9], 0, 0
	s_waitcnt lgkmcnt(0)
	s_and_saveexec_b64 s[6:7], vcc
	s_cbranch_execz .LBB14_33
; %bb.12:
	v_add_u32_e32 v23, -1, v4
	v_subrev_u32_e32 v24, s33, v5
	v_cmp_eq_u32_e64 s[0:1], 31, v5
	s_mov_b64 s[10:11], 0
	v_pk_mov_b32 v[8:9], 0, 0
	v_mov_b32_e32 v25, s19
	v_mov_b32_e32 v26, s21
	;; [unrolled: 1-line block ×5, first 2 shown]
	s_branch .LBB14_15
.LBB14_13:                              ;   in Loop: Header=BB14_15 Depth=1
	s_or_b64 exec, exec, s[26:27]
.LBB14_14:                              ;   in Loop: Header=BB14_15 Depth=1
	s_or_b64 exec, exec, s[24:25]
	v_add_u32_e32 v6, 1, v6
	v_cmp_ge_i32_e32 vcc, v6, v4
	s_xor_b64 s[2:3], s[2:3], -1
	s_or_b64 s[2:3], s[2:3], vcc
	s_and_b64 s[2:3], exec, s[2:3]
	s_or_b64 s[10:11], s[2:3], s[10:11]
	s_andn2_b64 exec, exec, s[10:11]
	s_cbranch_execz .LBB14_32
.LBB14_15:                              ; =>This Loop Header: Depth=1
                                        ;     Child Loop BB14_16 Depth 2
                                        ;     Child Loop BB14_22 Depth 2
                                        ;       Child Loop BB14_25 Depth 3
	v_ashrrev_i32_e32 v7, 31, v6
	v_lshlrev_b64 v[10:11], 2, v[6:7]
	v_add_co_u32_e32 v10, vcc, s18, v10
	v_addc_co_u32_e32 v11, vcc, v25, v11, vcc
	global_load_dword v14, v[10:11], off
	v_lshlrev_b64 v[10:11], 3, v[6:7]
	v_add_co_u32_e32 v10, vcc, s20, v10
	v_addc_co_u32_e32 v11, vcc, v26, v11, vcc
	global_load_dwordx2 v[12:13], v[10:11], off
	s_mov_b64 s[2:3], 0
	s_waitcnt vmcnt(1)
	v_subrev_u32_e32 v14, s33, v14
	v_ashrrev_i32_e32 v15, 31, v14
	v_lshlrev_b64 v[14:15], 2, v[14:15]
	v_add_co_u32_e32 v18, vcc, s16, v14
	v_addc_co_u32_e32 v19, vcc, v27, v15, vcc
	v_add_co_u32_e32 v20, vcc, s22, v14
	v_addc_co_u32_e32 v21, vcc, v28, v15, vcc
	global_load_dword v7, v[18:19], off
	global_load_dword v16, v[20:21], off
	v_add_co_u32_e32 v14, vcc, s8, v14
	v_addc_co_u32_e32 v15, vcc, v29, v15, vcc
.LBB14_16:                              ;   Parent Loop BB14_15 Depth=1
                                        ; =>  This Inner Loop Header: Depth=2
	global_load_dword v17, v[14:15], off glc
	s_waitcnt vmcnt(0)
	v_cmp_ne_u32_e32 vcc, 0, v17
	s_or_b64 s[2:3], vcc, s[2:3]
	s_andn2_b64 exec, exec, s[2:3]
	s_cbranch_execnz .LBB14_16
; %bb.17:                               ;   in Loop: Header=BB14_15 Depth=1
	s_or_b64 exec, exec, s[2:3]
	v_cmp_eq_u32_e32 vcc, -1, v16
	v_cndmask_b32_e32 v16, v16, v23, vcc
	v_ashrrev_i32_e32 v17, 31, v16
	v_lshlrev_b64 v[14:15], 3, v[16:17]
	v_add_co_u32_e32 v14, vcc, s20, v14
	v_addc_co_u32_e32 v15, vcc, v26, v15, vcc
	buffer_wbinvl1_vol
	global_load_dwordx2 v[14:15], v[14:15], off
	s_waitcnt vmcnt(0)
	v_cmp_neq_f64_e64 s[2:3], 0, v[14:15]
	s_and_saveexec_b64 s[24:25], s[2:3]
	s_cbranch_execz .LBB14_14
; %bb.18:                               ;   in Loop: Header=BB14_15 Depth=1
	v_add_u32_e32 v20, v24, v7
	v_cmp_lt_i32_e32 vcc, v20, v16
	v_pk_mov_b32 v[18:19], 0, 0
	s_and_saveexec_b64 s[26:27], vcc
	s_cbranch_execz .LBB14_30
; %bb.19:                               ;   in Loop: Header=BB14_15 Depth=1
	s_mov_b64 s[28:29], 0
	v_pk_mov_b32 v[18:19], 0, 0
	s_branch .LBB14_22
.LBB14_20:                              ;   in Loop: Header=BB14_22 Depth=2
	s_or_b64 exec, exec, s[34:35]
.LBB14_21:                              ;   in Loop: Header=BB14_22 Depth=2
	s_or_b64 exec, exec, s[30:31]
	v_add_u32_e32 v20, 32, v20
	v_cmp_ge_i32_e32 vcc, v20, v16
	s_or_b64 s[28:29], vcc, s[28:29]
	s_andn2_b64 exec, exec, s[28:29]
	s_cbranch_execz .LBB14_29
.LBB14_22:                              ;   Parent Loop BB14_15 Depth=1
                                        ; =>  This Loop Header: Depth=2
                                        ;       Child Loop BB14_25 Depth 3
	v_ashrrev_i32_e32 v21, 31, v20
	v_lshlrev_b64 v[30:31], 2, v[20:21]
	v_add_co_u32_e32 v30, vcc, s18, v30
	v_addc_co_u32_e32 v31, vcc, v25, v31, vcc
	global_load_dword v7, v[30:31], off
	s_waitcnt vmcnt(0)
	v_mul_lo_u32 v17, v7, 7
	v_and_b32_e32 v31, 31, v17
	v_lshl_add_u32 v17, v31, 2, v22
	ds_read_b32 v30, v17
	s_waitcnt lgkmcnt(0)
	v_cmp_ne_u32_e32 vcc, -1, v30
	s_and_saveexec_b64 s[30:31], vcc
	s_cbranch_execz .LBB14_21
; %bb.23:                               ;   in Loop: Header=BB14_22 Depth=2
	s_mov_b64 s[34:35], 0
                                        ; implicit-def: $sgpr36_sgpr37
                                        ; implicit-def: $sgpr40_sgpr41
                                        ; implicit-def: $sgpr38_sgpr39
	s_branch .LBB14_25
.LBB14_24:                              ;   in Loop: Header=BB14_25 Depth=3
	s_or_b64 exec, exec, s[42:43]
	s_and_b64 s[42:43], exec, s[40:41]
	s_or_b64 s[34:35], s[42:43], s[34:35]
	s_andn2_b64 s[36:37], s[36:37], exec
	s_and_b64 s[42:43], s[38:39], exec
	s_or_b64 s[36:37], s[36:37], s[42:43]
	s_andn2_b64 exec, exec, s[34:35]
	s_cbranch_execz .LBB14_27
.LBB14_25:                              ;   Parent Loop BB14_15 Depth=1
                                        ;     Parent Loop BB14_22 Depth=2
                                        ; =>    This Inner Loop Header: Depth=3
	v_mov_b32_e32 v17, v31
	v_cmp_ne_u32_e32 vcc, v30, v7
	s_or_b64 s[38:39], s[38:39], exec
	s_or_b64 s[40:41], s[40:41], exec
                                        ; implicit-def: $vgpr31
                                        ; implicit-def: $vgpr30
	s_and_saveexec_b64 s[42:43], vcc
	s_cbranch_execz .LBB14_24
; %bb.26:                               ;   in Loop: Header=BB14_25 Depth=3
	v_add_u32_e32 v30, 1, v17
	v_and_b32_e32 v31, 31, v30
	v_lshl_add_u32 v30, v31, 2, v22
	ds_read_b32 v30, v30
	s_andn2_b64 s[40:41], s[40:41], exec
	s_andn2_b64 s[38:39], s[38:39], exec
	s_waitcnt lgkmcnt(0)
	v_cmp_eq_u32_e32 vcc, -1, v30
	s_and_b64 s[44:45], vcc, exec
	s_or_b64 s[40:41], s[40:41], s[44:45]
	s_branch .LBB14_24
.LBB14_27:                              ;   in Loop: Header=BB14_22 Depth=2
	s_or_b64 exec, exec, s[34:35]
	s_and_saveexec_b64 s[34:35], s[36:37]
	s_xor_b64 s[34:35], exec, s[34:35]
	s_cbranch_execz .LBB14_20
; %bb.28:                               ;   in Loop: Header=BB14_22 Depth=2
	v_lshl_add_u32 v7, v17, 2, v3
	ds_read_b32 v30, v7
	v_lshlrev_b64 v[32:33], 3, v[20:21]
	v_mov_b32_e32 v7, s21
	v_add_co_u32_e32 v32, vcc, s20, v32
	s_waitcnt lgkmcnt(0)
	v_ashrrev_i32_e32 v31, 31, v30
	v_addc_co_u32_e32 v33, vcc, v7, v33, vcc
	v_lshlrev_b64 v[30:31], 3, v[30:31]
	v_add_co_u32_e32 v30, vcc, s20, v30
	v_addc_co_u32_e32 v31, vcc, v7, v31, vcc
	global_load_dwordx2 v[34:35], v[32:33], off
	global_load_dwordx2 v[36:37], v[30:31], off
	s_waitcnt vmcnt(0)
	v_fmac_f64_e32 v[18:19], v[34:35], v[36:37]
	s_branch .LBB14_20
.LBB14_29:                              ;   in Loop: Header=BB14_15 Depth=1
	s_or_b64 exec, exec, s[28:29]
.LBB14_30:                              ;   in Loop: Header=BB14_15 Depth=1
	s_or_b64 exec, exec, s[26:27]
	v_mov_b32_dpp v16, v18 row_shr:1 row_mask:0xf bank_mask:0xf
	v_mov_b32_dpp v17, v19 row_shr:1 row_mask:0xf bank_mask:0xf
	v_add_f64 v[16:17], v[18:19], v[16:17]
	s_nop 1
	v_mov_b32_dpp v18, v16 row_shr:2 row_mask:0xf bank_mask:0xf
	v_mov_b32_dpp v19, v17 row_shr:2 row_mask:0xf bank_mask:0xf
	v_add_f64 v[16:17], v[16:17], v[18:19]
	s_nop 1
	;; [unrolled: 4-line block ×4, first 2 shown]
	v_mov_b32_dpp v18, v16 row_bcast:15 row_mask:0xa bank_mask:0xf
	v_mov_b32_dpp v19, v17 row_bcast:15 row_mask:0xa bank_mask:0xf
	s_and_saveexec_b64 s[26:27], s[0:1]
	s_cbranch_execz .LBB14_13
; %bb.31:                               ;   in Loop: Header=BB14_15 Depth=1
	v_div_scale_f64 v[20:21], s[28:29], v[14:15], v[14:15], 1.0
	v_rcp_f64_e32 v[30:31], v[20:21]
	v_div_scale_f64 v[32:33], vcc, 1.0, v[14:15], 1.0
	v_add_f64 v[16:17], v[16:17], v[18:19]
	v_fma_f64 v[34:35], -v[20:21], v[30:31], 1.0
	v_fmac_f64_e32 v[30:31], v[30:31], v[34:35]
	v_fma_f64 v[34:35], -v[20:21], v[30:31], 1.0
	v_fmac_f64_e32 v[30:31], v[30:31], v[34:35]
	v_mul_f64 v[34:35], v[32:33], v[30:31]
	v_fma_f64 v[20:21], -v[20:21], v[34:35], v[32:33]
	v_div_fmas_f64 v[20:21], v[20:21], v[30:31], v[34:35]
	v_div_fixup_f64 v[14:15], v[20:21], v[14:15], 1.0
	v_add_f64 v[12:13], v[12:13], -v[16:17]
	v_mul_f64 v[12:13], v[14:15], v[12:13]
	v_fmac_f64_e32 v[8:9], v[12:13], v[12:13]
	global_store_dwordx2 v[10:11], v[12:13], off
	s_branch .LBB14_13
.LBB14_32:
	s_or_b64 exec, exec, s[10:11]
.LBB14_33:
	s_or_b64 exec, exec, s[6:7]
	v_cmp_eq_u32_e32 vcc, 31, v5
	v_cmp_lt_i32_e64 s[0:1], -1, v4
	s_and_b64 s[0:1], vcc, s[0:1]
	s_and_saveexec_b64 s[2:3], s[0:1]
	s_cbranch_execz .LBB14_44
; %bb.34:
	v_mov_b32_e32 v5, 0
	v_lshlrev_b64 v[4:5], 3, v[4:5]
	v_mov_b32_e32 v3, s21
	v_add_co_u32_e64 v4, s[0:1], s20, v4
	v_addc_co_u32_e64 v5, s[0:1], v3, v5, s[0:1]
	global_load_dwordx2 v[6:7], v[4:5], off
	s_load_dwordx2 s[0:1], s[4:5], 0x48
	v_add_u32_e32 v2, s33, v2
	s_waitcnt lgkmcnt(0)
	v_mul_f64 v[10:11], s[0:1], s[0:1]
	s_waitcnt vmcnt(0)
	v_add_f64 v[6:7], v[6:7], -v[8:9]
	v_cmp_le_f64_e64 s[0:1], v[6:7], v[10:11]
	s_and_saveexec_b64 s[4:5], s[0:1]
	s_cbranch_execz .LBB14_39
; %bb.35:
	s_mov_b64 s[0:1], exec
	s_brev_b32 s6, -2
.LBB14_36:                              ; =>This Inner Loop Header: Depth=1
	s_ff1_i32_b64 s7, s[0:1]
	v_readlane_b32 s16, v2, s7
	s_lshl_b64 s[10:11], 1, s7
	s_min_i32 s6, s6, s16
	s_andn2_b64 s[0:1], s[0:1], s[10:11]
	s_cmp_lg_u64 s[0:1], 0
	s_cbranch_scc1 .LBB14_36
; %bb.37:
	v_mbcnt_lo_u32_b32 v3, exec_lo, 0
	v_mbcnt_hi_u32_b32 v3, exec_hi, v3
	v_cmp_eq_u32_e64 s[0:1], 0, v3
	s_and_saveexec_b64 s[10:11], s[0:1]
	s_xor_b64 s[10:11], exec, s[10:11]
	s_cbranch_execz .LBB14_39
; %bb.38:
	v_mov_b32_e32 v3, 0
	v_mov_b32_e32 v8, s6
	global_atomic_smin v3, v8, s[14:15]
.LBB14_39:
	s_or_b64 exec, exec, s[4:5]
	v_xor_b32_e32 v3, 0x80000000, v7
	v_cmp_gt_f64_e64 s[0:1], 0, v[6:7]
	v_cndmask_b32_e64 v7, v7, v3, s[0:1]
	v_cndmask_b32_e64 v6, v6, v6, s[0:1]
	s_mov_b32 s0, 0
	s_brev_b32 s1, 8
	v_cmp_gt_f64_e64 s[0:1], s[0:1], v[6:7]
	v_cndmask_b32_e64 v3, 0, 1, s[0:1]
	v_lshlrev_b32_e32 v3, 8, v3
	v_ldexp_f64 v[6:7], v[6:7], v3
	v_rsq_f64_e32 v[8:9], v[6:7]
	v_mov_b32_e32 v3, 0xffffff80
	v_cndmask_b32_e64 v3, 0, v3, s[0:1]
	v_mul_f64 v[10:11], v[6:7], v[8:9]
	v_mul_f64 v[8:9], v[8:9], 0.5
	v_fma_f64 v[12:13], -v[8:9], v[10:11], 0.5
	v_fmac_f64_e32 v[10:11], v[10:11], v[12:13]
	v_fma_f64 v[14:15], -v[10:11], v[10:11], v[6:7]
	v_fmac_f64_e32 v[8:9], v[8:9], v[12:13]
	v_fmac_f64_e32 v[10:11], v[14:15], v[8:9]
	v_fma_f64 v[12:13], -v[10:11], v[10:11], v[6:7]
	v_fmac_f64_e32 v[10:11], v[12:13], v[8:9]
	v_ldexp_f64 v[8:9], v[10:11], v3
	v_mov_b32_e32 v3, 0x260
	v_cmp_class_f64_e64 s[0:1], v[6:7], v3
	v_cndmask_b32_e64 v7, v9, v7, s[0:1]
	v_cndmask_b32_e64 v6, v8, v6, s[0:1]
	v_cmp_eq_f64_e64 s[0:1], 0, v[6:7]
	global_store_dwordx2 v[4:5], v[6:7], off
	s_and_b64 exec, exec, s[0:1]
	s_cbranch_execz .LBB14_44
; %bb.40:
	s_mov_b64 s[0:1], exec
	s_brev_b32 s4, -2
.LBB14_41:                              ; =>This Inner Loop Header: Depth=1
	s_ff1_i32_b64 s5, s[0:1]
	v_readlane_b32 s10, v2, s5
	s_lshl_b64 s[6:7], 1, s5
	s_min_i32 s4, s4, s10
	s_andn2_b64 s[0:1], s[0:1], s[6:7]
	s_cmp_lg_u64 s[0:1], 0
	s_cbranch_scc1 .LBB14_41
; %bb.42:
	v_mbcnt_lo_u32_b32 v2, exec_lo, 0
	v_mbcnt_hi_u32_b32 v2, exec_hi, v2
	v_cmp_eq_u32_e64 s[0:1], 0, v2
	s_and_saveexec_b64 s[6:7], s[0:1]
	s_xor_b64 s[6:7], exec, s[6:7]
	s_cbranch_execz .LBB14_44
; %bb.43:
	v_mov_b32_e32 v2, 0
	v_mov_b32_e32 v3, s4
	global_atomic_smin v2, v3, s[12:13]
.LBB14_44:
	s_or_b64 exec, exec, s[2:3]
	s_and_b64 exec, exec, vcc
	s_cbranch_execz .LBB14_46
; %bb.45:
	v_mov_b32_e32 v2, s9
	v_add_co_u32_e32 v0, vcc, s8, v0
	v_addc_co_u32_e32 v1, vcc, v2, v1, vcc
	v_mov_b32_e32 v2, 1
	s_waitcnt vmcnt(0)
	global_store_dword v[0:1], v2, off
.LBB14_46:
	s_endpgm
	.section	.rodata,"a",@progbits
	.p2align	6, 0x0
	.amdhsa_kernel _ZN9rocsparseL18csric0_hash_kernelILj256ELj32ELj1EdEEviPKiS2_PT2_S2_PiS2_S5_S5_d21rocsparse_index_base_
		.amdhsa_group_segment_fixed_size 2048
		.amdhsa_private_segment_fixed_size 0
		.amdhsa_kernarg_size 84
		.amdhsa_user_sgpr_count 6
		.amdhsa_user_sgpr_private_segment_buffer 1
		.amdhsa_user_sgpr_dispatch_ptr 0
		.amdhsa_user_sgpr_queue_ptr 0
		.amdhsa_user_sgpr_kernarg_segment_ptr 1
		.amdhsa_user_sgpr_dispatch_id 0
		.amdhsa_user_sgpr_flat_scratch_init 0
		.amdhsa_user_sgpr_kernarg_preload_length 0
		.amdhsa_user_sgpr_kernarg_preload_offset 0
		.amdhsa_user_sgpr_private_segment_size 0
		.amdhsa_uses_dynamic_stack 0
		.amdhsa_system_sgpr_private_segment_wavefront_offset 0
		.amdhsa_system_sgpr_workgroup_id_x 1
		.amdhsa_system_sgpr_workgroup_id_y 0
		.amdhsa_system_sgpr_workgroup_id_z 0
		.amdhsa_system_sgpr_workgroup_info 0
		.amdhsa_system_vgpr_workitem_id 0
		.amdhsa_next_free_vgpr 38
		.amdhsa_next_free_sgpr 46
		.amdhsa_accum_offset 40
		.amdhsa_reserve_vcc 1
		.amdhsa_reserve_flat_scratch 0
		.amdhsa_float_round_mode_32 0
		.amdhsa_float_round_mode_16_64 0
		.amdhsa_float_denorm_mode_32 3
		.amdhsa_float_denorm_mode_16_64 3
		.amdhsa_dx10_clamp 1
		.amdhsa_ieee_mode 1
		.amdhsa_fp16_overflow 0
		.amdhsa_tg_split 0
		.amdhsa_exception_fp_ieee_invalid_op 0
		.amdhsa_exception_fp_denorm_src 0
		.amdhsa_exception_fp_ieee_div_zero 0
		.amdhsa_exception_fp_ieee_overflow 0
		.amdhsa_exception_fp_ieee_underflow 0
		.amdhsa_exception_fp_ieee_inexact 0
		.amdhsa_exception_int_div_zero 0
	.end_amdhsa_kernel
	.section	.text._ZN9rocsparseL18csric0_hash_kernelILj256ELj32ELj1EdEEviPKiS2_PT2_S2_PiS2_S5_S5_d21rocsparse_index_base_,"axG",@progbits,_ZN9rocsparseL18csric0_hash_kernelILj256ELj32ELj1EdEEviPKiS2_PT2_S2_PiS2_S5_S5_d21rocsparse_index_base_,comdat
.Lfunc_end14:
	.size	_ZN9rocsparseL18csric0_hash_kernelILj256ELj32ELj1EdEEviPKiS2_PT2_S2_PiS2_S5_S5_d21rocsparse_index_base_, .Lfunc_end14-_ZN9rocsparseL18csric0_hash_kernelILj256ELj32ELj1EdEEviPKiS2_PT2_S2_PiS2_S5_S5_d21rocsparse_index_base_
                                        ; -- End function
	.section	.AMDGPU.csdata,"",@progbits
; Kernel info:
; codeLenInByte = 2028
; NumSgprs: 50
; NumVgprs: 38
; NumAgprs: 0
; TotalNumVgprs: 38
; ScratchSize: 0
; MemoryBound: 0
; FloatMode: 240
; IeeeMode: 1
; LDSByteSize: 2048 bytes/workgroup (compile time only)
; SGPRBlocks: 6
; VGPRBlocks: 4
; NumSGPRsForWavesPerEU: 50
; NumVGPRsForWavesPerEU: 38
; AccumOffset: 40
; Occupancy: 8
; WaveLimiterHint : 1
; COMPUTE_PGM_RSRC2:SCRATCH_EN: 0
; COMPUTE_PGM_RSRC2:USER_SGPR: 6
; COMPUTE_PGM_RSRC2:TRAP_HANDLER: 0
; COMPUTE_PGM_RSRC2:TGID_X_EN: 1
; COMPUTE_PGM_RSRC2:TGID_Y_EN: 0
; COMPUTE_PGM_RSRC2:TGID_Z_EN: 0
; COMPUTE_PGM_RSRC2:TIDIG_COMP_CNT: 0
; COMPUTE_PGM_RSRC3_GFX90A:ACCUM_OFFSET: 9
; COMPUTE_PGM_RSRC3_GFX90A:TG_SPLIT: 0
	.section	.text._ZN9rocsparseL18csric0_hash_kernelILj256ELj32ELj2EdEEviPKiS2_PT2_S2_PiS2_S5_S5_d21rocsparse_index_base_,"axG",@progbits,_ZN9rocsparseL18csric0_hash_kernelILj256ELj32ELj2EdEEviPKiS2_PT2_S2_PiS2_S5_S5_d21rocsparse_index_base_,comdat
	.globl	_ZN9rocsparseL18csric0_hash_kernelILj256ELj32ELj2EdEEviPKiS2_PT2_S2_PiS2_S5_S5_d21rocsparse_index_base_ ; -- Begin function _ZN9rocsparseL18csric0_hash_kernelILj256ELj32ELj2EdEEviPKiS2_PT2_S2_PiS2_S5_S5_d21rocsparse_index_base_
	.p2align	8
	.type	_ZN9rocsparseL18csric0_hash_kernelILj256ELj32ELj2EdEEviPKiS2_PT2_S2_PiS2_S5_S5_d21rocsparse_index_base_,@function
_ZN9rocsparseL18csric0_hash_kernelILj256ELj32ELj2EdEEviPKiS2_PT2_S2_PiS2_S5_S5_d21rocsparse_index_base_: ; @_ZN9rocsparseL18csric0_hash_kernelILj256ELj32ELj2EdEEviPKiS2_PT2_S2_PiS2_S5_S5_d21rocsparse_index_base_
; %bb.0:
	s_load_dword s0, s[4:5], 0x0
	v_lshlrev_b32_e32 v1, 1, v0
	s_lshl_b32 s1, s6, 3
	v_and_b32_e32 v5, 31, v0
	v_and_b32_e32 v6, 0x1c0, v1
	v_mov_b32_e32 v1, 0x800
	v_lshrrev_b32_e32 v0, 5, v0
	s_and_b32 s1, s1, 0x7fffff8
	v_lshl_or_b32 v22, v6, 2, v1
	v_or_b32_e32 v0, s1, v0
	v_lshl_or_b32 v1, v5, 2, v22
	v_mov_b32_e32 v2, -1
	s_waitcnt lgkmcnt(0)
	v_cmp_gt_i32_e32 vcc, s0, v0
	ds_write2_b32 v1, v2, v2 offset1:32
	s_waitcnt lgkmcnt(0)
	s_and_saveexec_b64 s[0:1], vcc
	s_cbranch_execz .LBB15_46
; %bb.1:
	s_load_dwordx8 s[8:15], s[4:5], 0x28
	v_lshlrev_b32_e32 v0, 2, v0
	s_load_dwordx8 s[16:23], s[4:5], 0x8
	s_load_dword s33, s[4:5], 0x50
	s_waitcnt lgkmcnt(0)
	global_load_dword v2, v0, s[10:11]
	v_mov_b32_e32 v7, s17
	v_mov_b32_e32 v4, s23
	s_waitcnt vmcnt(0)
	v_ashrrev_i32_e32 v3, 31, v2
	v_lshlrev_b64 v[0:1], 2, v[2:3]
	v_add_co_u32_e32 v8, vcc, s16, v0
	v_addc_co_u32_e32 v9, vcc, v7, v1, vcc
	global_load_dwordx2 v[8:9], v[8:9], off
	v_add_co_u32_e32 v10, vcc, s22, v0
	v_addc_co_u32_e32 v11, vcc, v4, v1, vcc
	global_load_dword v4, v[10:11], off
	v_lshlrev_b32_e32 v3, 2, v6
	s_waitcnt vmcnt(1)
	v_subrev_u32_e32 v6, s33, v8
	v_subrev_u32_e32 v7, s33, v9
	v_add_u32_e32 v8, v6, v5
	v_cmp_lt_i32_e32 vcc, v8, v7
	s_and_saveexec_b64 s[0:1], vcc
	s_cbranch_execz .LBB15_11
; %bb.2:
	s_mov_b64 s[2:3], 0
	v_mov_b32_e32 v10, s19
	v_mov_b32_e32 v11, -1
	s_branch .LBB15_4
.LBB15_3:                               ;   in Loop: Header=BB15_4 Depth=1
	s_or_b64 exec, exec, s[6:7]
	v_add_u32_e32 v8, 32, v8
	v_cmp_ge_i32_e32 vcc, v8, v7
	s_or_b64 s[2:3], vcc, s[2:3]
	s_andn2_b64 exec, exec, s[2:3]
	s_cbranch_execz .LBB15_11
.LBB15_4:                               ; =>This Loop Header: Depth=1
                                        ;     Child Loop BB15_7 Depth 2
	v_ashrrev_i32_e32 v9, 31, v8
	v_lshlrev_b64 v[12:13], 2, v[8:9]
	v_add_co_u32_e32 v12, vcc, s18, v12
	v_addc_co_u32_e32 v13, vcc, v10, v13, vcc
	global_load_dword v9, v[12:13], off
	s_waitcnt vmcnt(0)
	v_mul_lo_u32 v12, v9, 39
	v_and_b32_e32 v12, 63, v12
	v_lshl_add_u32 v13, v12, 2, v22
	ds_read_b32 v14, v13
	s_waitcnt lgkmcnt(0)
	v_cmp_ne_u32_e32 vcc, v14, v9
	s_and_saveexec_b64 s[6:7], vcc
	s_cbranch_execz .LBB15_3
; %bb.5:                                ;   in Loop: Header=BB15_4 Depth=1
	s_mov_b64 s[10:11], 0
                                        ; implicit-def: $sgpr24_sgpr25
                                        ; implicit-def: $sgpr28_sgpr29
                                        ; implicit-def: $sgpr26_sgpr27
	s_branch .LBB15_7
.LBB15_6:                               ;   in Loop: Header=BB15_7 Depth=2
	s_or_b64 exec, exec, s[30:31]
	s_and_b64 s[30:31], exec, s[28:29]
	s_or_b64 s[10:11], s[30:31], s[10:11]
	s_andn2_b64 s[24:25], s[24:25], exec
	s_and_b64 s[30:31], s[26:27], exec
	s_or_b64 s[24:25], s[24:25], s[30:31]
	s_andn2_b64 exec, exec, s[10:11]
	s_cbranch_execz .LBB15_9
.LBB15_7:                               ;   Parent Loop BB15_4 Depth=1
                                        ; =>  This Inner Loop Header: Depth=2
	ds_cmpst_rtn_b32 v13, v13, v11, v9
	v_mov_b32_e32 v14, v12
	s_or_b64 s[26:27], s[26:27], exec
	s_or_b64 s[28:29], s[28:29], exec
                                        ; implicit-def: $vgpr12
	s_waitcnt lgkmcnt(0)
	v_cmp_ne_u32_e32 vcc, -1, v13
                                        ; implicit-def: $vgpr13
	s_and_saveexec_b64 s[30:31], vcc
	s_cbranch_execz .LBB15_6
; %bb.8:                                ;   in Loop: Header=BB15_7 Depth=2
	v_add_u32_e32 v12, 1, v14
	v_and_b32_e32 v12, 63, v12
	v_lshl_add_u32 v13, v12, 2, v22
	ds_read_b32 v15, v13
	s_andn2_b64 s[28:29], s[28:29], exec
	s_andn2_b64 s[26:27], s[26:27], exec
	s_waitcnt lgkmcnt(0)
	v_cmp_eq_u32_e32 vcc, v15, v9
	s_and_b64 s[34:35], vcc, exec
	s_or_b64 s[28:29], s[28:29], s[34:35]
	s_branch .LBB15_6
.LBB15_9:                               ;   in Loop: Header=BB15_4 Depth=1
	s_or_b64 exec, exec, s[10:11]
	s_and_saveexec_b64 s[10:11], s[24:25]
	s_xor_b64 s[10:11], exec, s[10:11]
	s_cbranch_execz .LBB15_3
; %bb.10:                               ;   in Loop: Header=BB15_4 Depth=1
	v_lshl_add_u32 v9, v14, 2, v3
	ds_write_b32 v9, v8
	s_branch .LBB15_3
.LBB15_11:
	s_or_b64 exec, exec, s[0:1]
	s_waitcnt vmcnt(0)
	v_cmp_lt_i32_e32 vcc, v6, v4
	v_pk_mov_b32 v[8:9], 0, 0
	s_waitcnt lgkmcnt(0)
	s_and_saveexec_b64 s[6:7], vcc
	s_cbranch_execz .LBB15_33
; %bb.12:
	v_add_u32_e32 v23, -1, v4
	v_subrev_u32_e32 v24, s33, v5
	v_cmp_eq_u32_e64 s[0:1], 31, v5
	s_mov_b64 s[10:11], 0
	v_pk_mov_b32 v[8:9], 0, 0
	v_mov_b32_e32 v25, s19
	v_mov_b32_e32 v26, s21
	;; [unrolled: 1-line block ×5, first 2 shown]
	s_branch .LBB15_15
.LBB15_13:                              ;   in Loop: Header=BB15_15 Depth=1
	s_or_b64 exec, exec, s[26:27]
.LBB15_14:                              ;   in Loop: Header=BB15_15 Depth=1
	s_or_b64 exec, exec, s[24:25]
	v_add_u32_e32 v6, 1, v6
	v_cmp_ge_i32_e32 vcc, v6, v4
	s_xor_b64 s[2:3], s[2:3], -1
	s_or_b64 s[2:3], s[2:3], vcc
	s_and_b64 s[2:3], exec, s[2:3]
	s_or_b64 s[10:11], s[2:3], s[10:11]
	s_andn2_b64 exec, exec, s[10:11]
	s_cbranch_execz .LBB15_32
.LBB15_15:                              ; =>This Loop Header: Depth=1
                                        ;     Child Loop BB15_16 Depth 2
                                        ;     Child Loop BB15_22 Depth 2
                                        ;       Child Loop BB15_25 Depth 3
	v_ashrrev_i32_e32 v7, 31, v6
	v_lshlrev_b64 v[10:11], 2, v[6:7]
	v_add_co_u32_e32 v10, vcc, s18, v10
	v_addc_co_u32_e32 v11, vcc, v25, v11, vcc
	global_load_dword v14, v[10:11], off
	v_lshlrev_b64 v[10:11], 3, v[6:7]
	v_add_co_u32_e32 v10, vcc, s20, v10
	v_addc_co_u32_e32 v11, vcc, v26, v11, vcc
	global_load_dwordx2 v[12:13], v[10:11], off
	s_mov_b64 s[2:3], 0
	s_waitcnt vmcnt(1)
	v_subrev_u32_e32 v14, s33, v14
	v_ashrrev_i32_e32 v15, 31, v14
	v_lshlrev_b64 v[14:15], 2, v[14:15]
	v_add_co_u32_e32 v18, vcc, s16, v14
	v_addc_co_u32_e32 v19, vcc, v27, v15, vcc
	v_add_co_u32_e32 v20, vcc, s22, v14
	v_addc_co_u32_e32 v21, vcc, v28, v15, vcc
	global_load_dword v7, v[18:19], off
	global_load_dword v16, v[20:21], off
	v_add_co_u32_e32 v14, vcc, s8, v14
	v_addc_co_u32_e32 v15, vcc, v29, v15, vcc
.LBB15_16:                              ;   Parent Loop BB15_15 Depth=1
                                        ; =>  This Inner Loop Header: Depth=2
	global_load_dword v17, v[14:15], off glc
	s_waitcnt vmcnt(0)
	v_cmp_ne_u32_e32 vcc, 0, v17
	s_or_b64 s[2:3], vcc, s[2:3]
	s_andn2_b64 exec, exec, s[2:3]
	s_cbranch_execnz .LBB15_16
; %bb.17:                               ;   in Loop: Header=BB15_15 Depth=1
	s_or_b64 exec, exec, s[2:3]
	v_cmp_eq_u32_e32 vcc, -1, v16
	v_cndmask_b32_e32 v16, v16, v23, vcc
	v_ashrrev_i32_e32 v17, 31, v16
	v_lshlrev_b64 v[14:15], 3, v[16:17]
	v_add_co_u32_e32 v14, vcc, s20, v14
	v_addc_co_u32_e32 v15, vcc, v26, v15, vcc
	buffer_wbinvl1_vol
	global_load_dwordx2 v[14:15], v[14:15], off
	s_waitcnt vmcnt(0)
	v_cmp_neq_f64_e64 s[2:3], 0, v[14:15]
	s_and_saveexec_b64 s[24:25], s[2:3]
	s_cbranch_execz .LBB15_14
; %bb.18:                               ;   in Loop: Header=BB15_15 Depth=1
	v_add_u32_e32 v20, v24, v7
	v_cmp_lt_i32_e32 vcc, v20, v16
	v_pk_mov_b32 v[18:19], 0, 0
	s_and_saveexec_b64 s[26:27], vcc
	s_cbranch_execz .LBB15_30
; %bb.19:                               ;   in Loop: Header=BB15_15 Depth=1
	s_mov_b64 s[28:29], 0
	v_pk_mov_b32 v[18:19], 0, 0
	s_branch .LBB15_22
.LBB15_20:                              ;   in Loop: Header=BB15_22 Depth=2
	s_or_b64 exec, exec, s[34:35]
.LBB15_21:                              ;   in Loop: Header=BB15_22 Depth=2
	s_or_b64 exec, exec, s[30:31]
	v_add_u32_e32 v20, 32, v20
	v_cmp_ge_i32_e32 vcc, v20, v16
	s_or_b64 s[28:29], vcc, s[28:29]
	s_andn2_b64 exec, exec, s[28:29]
	s_cbranch_execz .LBB15_29
.LBB15_22:                              ;   Parent Loop BB15_15 Depth=1
                                        ; =>  This Loop Header: Depth=2
                                        ;       Child Loop BB15_25 Depth 3
	v_ashrrev_i32_e32 v21, 31, v20
	v_lshlrev_b64 v[30:31], 2, v[20:21]
	v_add_co_u32_e32 v30, vcc, s18, v30
	v_addc_co_u32_e32 v31, vcc, v25, v31, vcc
	global_load_dword v7, v[30:31], off
	s_waitcnt vmcnt(0)
	v_mul_lo_u32 v17, v7, 39
	v_and_b32_e32 v31, 63, v17
	v_lshl_add_u32 v17, v31, 2, v22
	ds_read_b32 v30, v17
	s_waitcnt lgkmcnt(0)
	v_cmp_ne_u32_e32 vcc, -1, v30
	s_and_saveexec_b64 s[30:31], vcc
	s_cbranch_execz .LBB15_21
; %bb.23:                               ;   in Loop: Header=BB15_22 Depth=2
	s_mov_b64 s[34:35], 0
                                        ; implicit-def: $sgpr36_sgpr37
                                        ; implicit-def: $sgpr40_sgpr41
                                        ; implicit-def: $sgpr38_sgpr39
	s_branch .LBB15_25
.LBB15_24:                              ;   in Loop: Header=BB15_25 Depth=3
	s_or_b64 exec, exec, s[42:43]
	s_and_b64 s[42:43], exec, s[40:41]
	s_or_b64 s[34:35], s[42:43], s[34:35]
	s_andn2_b64 s[36:37], s[36:37], exec
	s_and_b64 s[42:43], s[38:39], exec
	s_or_b64 s[36:37], s[36:37], s[42:43]
	s_andn2_b64 exec, exec, s[34:35]
	s_cbranch_execz .LBB15_27
.LBB15_25:                              ;   Parent Loop BB15_15 Depth=1
                                        ;     Parent Loop BB15_22 Depth=2
                                        ; =>    This Inner Loop Header: Depth=3
	v_mov_b32_e32 v17, v31
	v_cmp_ne_u32_e32 vcc, v30, v7
	s_or_b64 s[38:39], s[38:39], exec
	s_or_b64 s[40:41], s[40:41], exec
                                        ; implicit-def: $vgpr31
                                        ; implicit-def: $vgpr30
	s_and_saveexec_b64 s[42:43], vcc
	s_cbranch_execz .LBB15_24
; %bb.26:                               ;   in Loop: Header=BB15_25 Depth=3
	v_add_u32_e32 v30, 1, v17
	v_and_b32_e32 v31, 63, v30
	v_lshl_add_u32 v30, v31, 2, v22
	ds_read_b32 v30, v30
	s_andn2_b64 s[40:41], s[40:41], exec
	s_andn2_b64 s[38:39], s[38:39], exec
	s_waitcnt lgkmcnt(0)
	v_cmp_eq_u32_e32 vcc, -1, v30
	s_and_b64 s[44:45], vcc, exec
	s_or_b64 s[40:41], s[40:41], s[44:45]
	s_branch .LBB15_24
.LBB15_27:                              ;   in Loop: Header=BB15_22 Depth=2
	s_or_b64 exec, exec, s[34:35]
	s_and_saveexec_b64 s[34:35], s[36:37]
	s_xor_b64 s[34:35], exec, s[34:35]
	s_cbranch_execz .LBB15_20
; %bb.28:                               ;   in Loop: Header=BB15_22 Depth=2
	v_lshl_add_u32 v7, v17, 2, v3
	ds_read_b32 v30, v7
	v_lshlrev_b64 v[32:33], 3, v[20:21]
	v_mov_b32_e32 v7, s21
	v_add_co_u32_e32 v32, vcc, s20, v32
	s_waitcnt lgkmcnt(0)
	v_ashrrev_i32_e32 v31, 31, v30
	v_addc_co_u32_e32 v33, vcc, v7, v33, vcc
	v_lshlrev_b64 v[30:31], 3, v[30:31]
	v_add_co_u32_e32 v30, vcc, s20, v30
	v_addc_co_u32_e32 v31, vcc, v7, v31, vcc
	global_load_dwordx2 v[34:35], v[32:33], off
	global_load_dwordx2 v[36:37], v[30:31], off
	s_waitcnt vmcnt(0)
	v_fmac_f64_e32 v[18:19], v[34:35], v[36:37]
	s_branch .LBB15_20
.LBB15_29:                              ;   in Loop: Header=BB15_15 Depth=1
	s_or_b64 exec, exec, s[28:29]
.LBB15_30:                              ;   in Loop: Header=BB15_15 Depth=1
	s_or_b64 exec, exec, s[26:27]
	v_mov_b32_dpp v16, v18 row_shr:1 row_mask:0xf bank_mask:0xf
	v_mov_b32_dpp v17, v19 row_shr:1 row_mask:0xf bank_mask:0xf
	v_add_f64 v[16:17], v[18:19], v[16:17]
	s_nop 1
	v_mov_b32_dpp v18, v16 row_shr:2 row_mask:0xf bank_mask:0xf
	v_mov_b32_dpp v19, v17 row_shr:2 row_mask:0xf bank_mask:0xf
	v_add_f64 v[16:17], v[16:17], v[18:19]
	s_nop 1
	;; [unrolled: 4-line block ×4, first 2 shown]
	v_mov_b32_dpp v18, v16 row_bcast:15 row_mask:0xa bank_mask:0xf
	v_mov_b32_dpp v19, v17 row_bcast:15 row_mask:0xa bank_mask:0xf
	s_and_saveexec_b64 s[26:27], s[0:1]
	s_cbranch_execz .LBB15_13
; %bb.31:                               ;   in Loop: Header=BB15_15 Depth=1
	v_div_scale_f64 v[20:21], s[28:29], v[14:15], v[14:15], 1.0
	v_rcp_f64_e32 v[30:31], v[20:21]
	v_div_scale_f64 v[32:33], vcc, 1.0, v[14:15], 1.0
	v_add_f64 v[16:17], v[16:17], v[18:19]
	v_fma_f64 v[34:35], -v[20:21], v[30:31], 1.0
	v_fmac_f64_e32 v[30:31], v[30:31], v[34:35]
	v_fma_f64 v[34:35], -v[20:21], v[30:31], 1.0
	v_fmac_f64_e32 v[30:31], v[30:31], v[34:35]
	v_mul_f64 v[34:35], v[32:33], v[30:31]
	v_fma_f64 v[20:21], -v[20:21], v[34:35], v[32:33]
	v_div_fmas_f64 v[20:21], v[20:21], v[30:31], v[34:35]
	v_div_fixup_f64 v[14:15], v[20:21], v[14:15], 1.0
	v_add_f64 v[12:13], v[12:13], -v[16:17]
	v_mul_f64 v[12:13], v[14:15], v[12:13]
	v_fmac_f64_e32 v[8:9], v[12:13], v[12:13]
	global_store_dwordx2 v[10:11], v[12:13], off
	s_branch .LBB15_13
.LBB15_32:
	s_or_b64 exec, exec, s[10:11]
.LBB15_33:
	s_or_b64 exec, exec, s[6:7]
	v_cmp_eq_u32_e32 vcc, 31, v5
	v_cmp_lt_i32_e64 s[0:1], -1, v4
	s_and_b64 s[0:1], vcc, s[0:1]
	s_and_saveexec_b64 s[2:3], s[0:1]
	s_cbranch_execz .LBB15_44
; %bb.34:
	v_mov_b32_e32 v5, 0
	v_lshlrev_b64 v[4:5], 3, v[4:5]
	v_mov_b32_e32 v3, s21
	v_add_co_u32_e64 v4, s[0:1], s20, v4
	v_addc_co_u32_e64 v5, s[0:1], v3, v5, s[0:1]
	global_load_dwordx2 v[6:7], v[4:5], off
	s_load_dwordx2 s[0:1], s[4:5], 0x48
	v_add_u32_e32 v2, s33, v2
	s_waitcnt lgkmcnt(0)
	v_mul_f64 v[10:11], s[0:1], s[0:1]
	s_waitcnt vmcnt(0)
	v_add_f64 v[6:7], v[6:7], -v[8:9]
	v_cmp_le_f64_e64 s[0:1], v[6:7], v[10:11]
	s_and_saveexec_b64 s[4:5], s[0:1]
	s_cbranch_execz .LBB15_39
; %bb.35:
	s_mov_b64 s[0:1], exec
	s_brev_b32 s6, -2
.LBB15_36:                              ; =>This Inner Loop Header: Depth=1
	s_ff1_i32_b64 s7, s[0:1]
	v_readlane_b32 s16, v2, s7
	s_lshl_b64 s[10:11], 1, s7
	s_min_i32 s6, s6, s16
	s_andn2_b64 s[0:1], s[0:1], s[10:11]
	s_cmp_lg_u64 s[0:1], 0
	s_cbranch_scc1 .LBB15_36
; %bb.37:
	v_mbcnt_lo_u32_b32 v3, exec_lo, 0
	v_mbcnt_hi_u32_b32 v3, exec_hi, v3
	v_cmp_eq_u32_e64 s[0:1], 0, v3
	s_and_saveexec_b64 s[10:11], s[0:1]
	s_xor_b64 s[10:11], exec, s[10:11]
	s_cbranch_execz .LBB15_39
; %bb.38:
	v_mov_b32_e32 v3, 0
	v_mov_b32_e32 v8, s6
	global_atomic_smin v3, v8, s[14:15]
.LBB15_39:
	s_or_b64 exec, exec, s[4:5]
	v_xor_b32_e32 v3, 0x80000000, v7
	v_cmp_gt_f64_e64 s[0:1], 0, v[6:7]
	v_cndmask_b32_e64 v7, v7, v3, s[0:1]
	v_cndmask_b32_e64 v6, v6, v6, s[0:1]
	s_mov_b32 s0, 0
	s_brev_b32 s1, 8
	v_cmp_gt_f64_e64 s[0:1], s[0:1], v[6:7]
	v_cndmask_b32_e64 v3, 0, 1, s[0:1]
	v_lshlrev_b32_e32 v3, 8, v3
	v_ldexp_f64 v[6:7], v[6:7], v3
	v_rsq_f64_e32 v[8:9], v[6:7]
	v_mov_b32_e32 v3, 0xffffff80
	v_cndmask_b32_e64 v3, 0, v3, s[0:1]
	v_mul_f64 v[10:11], v[6:7], v[8:9]
	v_mul_f64 v[8:9], v[8:9], 0.5
	v_fma_f64 v[12:13], -v[8:9], v[10:11], 0.5
	v_fmac_f64_e32 v[10:11], v[10:11], v[12:13]
	v_fma_f64 v[14:15], -v[10:11], v[10:11], v[6:7]
	v_fmac_f64_e32 v[8:9], v[8:9], v[12:13]
	v_fmac_f64_e32 v[10:11], v[14:15], v[8:9]
	v_fma_f64 v[12:13], -v[10:11], v[10:11], v[6:7]
	v_fmac_f64_e32 v[10:11], v[12:13], v[8:9]
	v_ldexp_f64 v[8:9], v[10:11], v3
	v_mov_b32_e32 v3, 0x260
	v_cmp_class_f64_e64 s[0:1], v[6:7], v3
	v_cndmask_b32_e64 v7, v9, v7, s[0:1]
	v_cndmask_b32_e64 v6, v8, v6, s[0:1]
	v_cmp_eq_f64_e64 s[0:1], 0, v[6:7]
	global_store_dwordx2 v[4:5], v[6:7], off
	s_and_b64 exec, exec, s[0:1]
	s_cbranch_execz .LBB15_44
; %bb.40:
	s_mov_b64 s[0:1], exec
	s_brev_b32 s4, -2
.LBB15_41:                              ; =>This Inner Loop Header: Depth=1
	s_ff1_i32_b64 s5, s[0:1]
	v_readlane_b32 s10, v2, s5
	s_lshl_b64 s[6:7], 1, s5
	s_min_i32 s4, s4, s10
	s_andn2_b64 s[0:1], s[0:1], s[6:7]
	s_cmp_lg_u64 s[0:1], 0
	s_cbranch_scc1 .LBB15_41
; %bb.42:
	v_mbcnt_lo_u32_b32 v2, exec_lo, 0
	v_mbcnt_hi_u32_b32 v2, exec_hi, v2
	v_cmp_eq_u32_e64 s[0:1], 0, v2
	s_and_saveexec_b64 s[6:7], s[0:1]
	s_xor_b64 s[6:7], exec, s[6:7]
	s_cbranch_execz .LBB15_44
; %bb.43:
	v_mov_b32_e32 v2, 0
	v_mov_b32_e32 v3, s4
	global_atomic_smin v2, v3, s[12:13]
.LBB15_44:
	s_or_b64 exec, exec, s[2:3]
	s_and_b64 exec, exec, vcc
	s_cbranch_execz .LBB15_46
; %bb.45:
	v_mov_b32_e32 v2, s9
	v_add_co_u32_e32 v0, vcc, s8, v0
	v_addc_co_u32_e32 v1, vcc, v2, v1, vcc
	v_mov_b32_e32 v2, 1
	s_waitcnt vmcnt(0)
	global_store_dword v[0:1], v2, off
.LBB15_46:
	s_endpgm
	.section	.rodata,"a",@progbits
	.p2align	6, 0x0
	.amdhsa_kernel _ZN9rocsparseL18csric0_hash_kernelILj256ELj32ELj2EdEEviPKiS2_PT2_S2_PiS2_S5_S5_d21rocsparse_index_base_
		.amdhsa_group_segment_fixed_size 4096
		.amdhsa_private_segment_fixed_size 0
		.amdhsa_kernarg_size 84
		.amdhsa_user_sgpr_count 6
		.amdhsa_user_sgpr_private_segment_buffer 1
		.amdhsa_user_sgpr_dispatch_ptr 0
		.amdhsa_user_sgpr_queue_ptr 0
		.amdhsa_user_sgpr_kernarg_segment_ptr 1
		.amdhsa_user_sgpr_dispatch_id 0
		.amdhsa_user_sgpr_flat_scratch_init 0
		.amdhsa_user_sgpr_kernarg_preload_length 0
		.amdhsa_user_sgpr_kernarg_preload_offset 0
		.amdhsa_user_sgpr_private_segment_size 0
		.amdhsa_uses_dynamic_stack 0
		.amdhsa_system_sgpr_private_segment_wavefront_offset 0
		.amdhsa_system_sgpr_workgroup_id_x 1
		.amdhsa_system_sgpr_workgroup_id_y 0
		.amdhsa_system_sgpr_workgroup_id_z 0
		.amdhsa_system_sgpr_workgroup_info 0
		.amdhsa_system_vgpr_workitem_id 0
		.amdhsa_next_free_vgpr 38
		.amdhsa_next_free_sgpr 46
		.amdhsa_accum_offset 40
		.amdhsa_reserve_vcc 1
		.amdhsa_reserve_flat_scratch 0
		.amdhsa_float_round_mode_32 0
		.amdhsa_float_round_mode_16_64 0
		.amdhsa_float_denorm_mode_32 3
		.amdhsa_float_denorm_mode_16_64 3
		.amdhsa_dx10_clamp 1
		.amdhsa_ieee_mode 1
		.amdhsa_fp16_overflow 0
		.amdhsa_tg_split 0
		.amdhsa_exception_fp_ieee_invalid_op 0
		.amdhsa_exception_fp_denorm_src 0
		.amdhsa_exception_fp_ieee_div_zero 0
		.amdhsa_exception_fp_ieee_overflow 0
		.amdhsa_exception_fp_ieee_underflow 0
		.amdhsa_exception_fp_ieee_inexact 0
		.amdhsa_exception_int_div_zero 0
	.end_amdhsa_kernel
	.section	.text._ZN9rocsparseL18csric0_hash_kernelILj256ELj32ELj2EdEEviPKiS2_PT2_S2_PiS2_S5_S5_d21rocsparse_index_base_,"axG",@progbits,_ZN9rocsparseL18csric0_hash_kernelILj256ELj32ELj2EdEEviPKiS2_PT2_S2_PiS2_S5_S5_d21rocsparse_index_base_,comdat
.Lfunc_end15:
	.size	_ZN9rocsparseL18csric0_hash_kernelILj256ELj32ELj2EdEEviPKiS2_PT2_S2_PiS2_S5_S5_d21rocsparse_index_base_, .Lfunc_end15-_ZN9rocsparseL18csric0_hash_kernelILj256ELj32ELj2EdEEviPKiS2_PT2_S2_PiS2_S5_S5_d21rocsparse_index_base_
                                        ; -- End function
	.section	.AMDGPU.csdata,"",@progbits
; Kernel info:
; codeLenInByte = 2032
; NumSgprs: 50
; NumVgprs: 38
; NumAgprs: 0
; TotalNumVgprs: 38
; ScratchSize: 0
; MemoryBound: 0
; FloatMode: 240
; IeeeMode: 1
; LDSByteSize: 4096 bytes/workgroup (compile time only)
; SGPRBlocks: 6
; VGPRBlocks: 4
; NumSGPRsForWavesPerEU: 50
; NumVGPRsForWavesPerEU: 38
; AccumOffset: 40
; Occupancy: 8
; WaveLimiterHint : 1
; COMPUTE_PGM_RSRC2:SCRATCH_EN: 0
; COMPUTE_PGM_RSRC2:USER_SGPR: 6
; COMPUTE_PGM_RSRC2:TRAP_HANDLER: 0
; COMPUTE_PGM_RSRC2:TGID_X_EN: 1
; COMPUTE_PGM_RSRC2:TGID_Y_EN: 0
; COMPUTE_PGM_RSRC2:TGID_Z_EN: 0
; COMPUTE_PGM_RSRC2:TIDIG_COMP_CNT: 0
; COMPUTE_PGM_RSRC3_GFX90A:ACCUM_OFFSET: 9
; COMPUTE_PGM_RSRC3_GFX90A:TG_SPLIT: 0
	.section	.text._ZN9rocsparseL18csric0_hash_kernelILj256ELj32ELj4EdEEviPKiS2_PT2_S2_PiS2_S5_S5_d21rocsparse_index_base_,"axG",@progbits,_ZN9rocsparseL18csric0_hash_kernelILj256ELj32ELj4EdEEviPKiS2_PT2_S2_PiS2_S5_S5_d21rocsparse_index_base_,comdat
	.globl	_ZN9rocsparseL18csric0_hash_kernelILj256ELj32ELj4EdEEviPKiS2_PT2_S2_PiS2_S5_S5_d21rocsparse_index_base_ ; -- Begin function _ZN9rocsparseL18csric0_hash_kernelILj256ELj32ELj4EdEEviPKiS2_PT2_S2_PiS2_S5_S5_d21rocsparse_index_base_
	.p2align	8
	.type	_ZN9rocsparseL18csric0_hash_kernelILj256ELj32ELj4EdEEviPKiS2_PT2_S2_PiS2_S5_S5_d21rocsparse_index_base_,@function
_ZN9rocsparseL18csric0_hash_kernelILj256ELj32ELj4EdEEviPKiS2_PT2_S2_PiS2_S5_S5_d21rocsparse_index_base_: ; @_ZN9rocsparseL18csric0_hash_kernelILj256ELj32ELj4EdEEviPKiS2_PT2_S2_PiS2_S5_S5_d21rocsparse_index_base_
; %bb.0:
	s_load_dword s0, s[4:5], 0x0
	v_lshlrev_b32_e32 v1, 2, v0
	s_lshl_b32 s1, s6, 3
	v_and_b32_e32 v5, 31, v0
	v_and_b32_e32 v6, 0x380, v1
	v_mov_b32_e32 v1, 0x1000
	v_lshrrev_b32_e32 v0, 5, v0
	s_and_b32 s1, s1, 0x7fffff8
	v_lshl_or_b32 v22, v6, 2, v1
	v_or_b32_e32 v0, s1, v0
	v_lshl_or_b32 v1, v5, 2, v22
	v_mov_b32_e32 v2, -1
	s_waitcnt lgkmcnt(0)
	v_cmp_gt_i32_e32 vcc, s0, v0
	ds_write2_b32 v1, v2, v2 offset1:32
	ds_write2_b32 v1, v2, v2 offset0:64 offset1:96
	s_waitcnt lgkmcnt(0)
	s_and_saveexec_b64 s[0:1], vcc
	s_cbranch_execz .LBB16_46
; %bb.1:
	s_load_dwordx8 s[8:15], s[4:5], 0x28
	v_lshlrev_b32_e32 v0, 2, v0
	s_load_dwordx8 s[16:23], s[4:5], 0x8
	s_load_dword s33, s[4:5], 0x50
	s_waitcnt lgkmcnt(0)
	global_load_dword v2, v0, s[10:11]
	v_mov_b32_e32 v7, s17
	v_mov_b32_e32 v4, s23
	s_waitcnt vmcnt(0)
	v_ashrrev_i32_e32 v3, 31, v2
	v_lshlrev_b64 v[0:1], 2, v[2:3]
	v_add_co_u32_e32 v8, vcc, s16, v0
	v_addc_co_u32_e32 v9, vcc, v7, v1, vcc
	global_load_dwordx2 v[8:9], v[8:9], off
	v_add_co_u32_e32 v10, vcc, s22, v0
	v_addc_co_u32_e32 v11, vcc, v4, v1, vcc
	global_load_dword v4, v[10:11], off
	v_lshlrev_b32_e32 v3, 2, v6
	s_waitcnt vmcnt(1)
	v_subrev_u32_e32 v6, s33, v8
	v_subrev_u32_e32 v7, s33, v9
	v_add_u32_e32 v8, v6, v5
	v_cmp_lt_i32_e32 vcc, v8, v7
	s_and_saveexec_b64 s[0:1], vcc
	s_cbranch_execz .LBB16_11
; %bb.2:
	s_mov_b64 s[2:3], 0
	v_mov_b32_e32 v10, s19
	s_movk_i32 s34, 0x67
	v_mov_b32_e32 v11, -1
	s_branch .LBB16_4
.LBB16_3:                               ;   in Loop: Header=BB16_4 Depth=1
	s_or_b64 exec, exec, s[6:7]
	v_add_u32_e32 v8, 32, v8
	v_cmp_ge_i32_e32 vcc, v8, v7
	s_or_b64 s[2:3], vcc, s[2:3]
	s_andn2_b64 exec, exec, s[2:3]
	s_cbranch_execz .LBB16_11
.LBB16_4:                               ; =>This Loop Header: Depth=1
                                        ;     Child Loop BB16_7 Depth 2
	v_ashrrev_i32_e32 v9, 31, v8
	v_lshlrev_b64 v[12:13], 2, v[8:9]
	v_add_co_u32_e32 v12, vcc, s18, v12
	v_addc_co_u32_e32 v13, vcc, v10, v13, vcc
	global_load_dword v9, v[12:13], off
	s_waitcnt vmcnt(0)
	v_mul_lo_u32 v12, v9, s34
	v_and_b32_e32 v12, 0x7f, v12
	v_lshl_add_u32 v13, v12, 2, v22
	ds_read_b32 v14, v13
	s_waitcnt lgkmcnt(0)
	v_cmp_ne_u32_e32 vcc, v14, v9
	s_and_saveexec_b64 s[6:7], vcc
	s_cbranch_execz .LBB16_3
; %bb.5:                                ;   in Loop: Header=BB16_4 Depth=1
	s_mov_b64 s[10:11], 0
                                        ; implicit-def: $sgpr24_sgpr25
                                        ; implicit-def: $sgpr28_sgpr29
                                        ; implicit-def: $sgpr26_sgpr27
	s_branch .LBB16_7
.LBB16_6:                               ;   in Loop: Header=BB16_7 Depth=2
	s_or_b64 exec, exec, s[30:31]
	s_and_b64 s[30:31], exec, s[28:29]
	s_or_b64 s[10:11], s[30:31], s[10:11]
	s_andn2_b64 s[24:25], s[24:25], exec
	s_and_b64 s[30:31], s[26:27], exec
	s_or_b64 s[24:25], s[24:25], s[30:31]
	s_andn2_b64 exec, exec, s[10:11]
	s_cbranch_execz .LBB16_9
.LBB16_7:                               ;   Parent Loop BB16_4 Depth=1
                                        ; =>  This Inner Loop Header: Depth=2
	ds_cmpst_rtn_b32 v13, v13, v11, v9
	v_mov_b32_e32 v14, v12
	s_or_b64 s[26:27], s[26:27], exec
	s_or_b64 s[28:29], s[28:29], exec
                                        ; implicit-def: $vgpr12
	s_waitcnt lgkmcnt(0)
	v_cmp_ne_u32_e32 vcc, -1, v13
                                        ; implicit-def: $vgpr13
	s_and_saveexec_b64 s[30:31], vcc
	s_cbranch_execz .LBB16_6
; %bb.8:                                ;   in Loop: Header=BB16_7 Depth=2
	v_add_u32_e32 v12, 1, v14
	v_and_b32_e32 v12, 0x7f, v12
	v_lshl_add_u32 v13, v12, 2, v22
	ds_read_b32 v15, v13
	s_andn2_b64 s[28:29], s[28:29], exec
	s_andn2_b64 s[26:27], s[26:27], exec
	s_waitcnt lgkmcnt(0)
	v_cmp_eq_u32_e32 vcc, v15, v9
	s_and_b64 s[36:37], vcc, exec
	s_or_b64 s[28:29], s[28:29], s[36:37]
	s_branch .LBB16_6
.LBB16_9:                               ;   in Loop: Header=BB16_4 Depth=1
	s_or_b64 exec, exec, s[10:11]
	s_and_saveexec_b64 s[10:11], s[24:25]
	s_xor_b64 s[10:11], exec, s[10:11]
	s_cbranch_execz .LBB16_3
; %bb.10:                               ;   in Loop: Header=BB16_4 Depth=1
	v_lshl_add_u32 v9, v14, 2, v3
	ds_write_b32 v9, v8
	s_branch .LBB16_3
.LBB16_11:
	s_or_b64 exec, exec, s[0:1]
	s_waitcnt vmcnt(0)
	v_cmp_lt_i32_e32 vcc, v6, v4
	v_pk_mov_b32 v[8:9], 0, 0
	s_waitcnt lgkmcnt(0)
	s_and_saveexec_b64 s[6:7], vcc
	s_cbranch_execz .LBB16_33
; %bb.12:
	v_add_u32_e32 v23, -1, v4
	v_subrev_u32_e32 v24, s33, v5
	v_cmp_eq_u32_e64 s[0:1], 31, v5
	s_mov_b64 s[10:11], 0
	v_pk_mov_b32 v[8:9], 0, 0
	v_mov_b32_e32 v25, s19
	v_mov_b32_e32 v26, s21
	;; [unrolled: 1-line block ×5, first 2 shown]
	s_movk_i32 s17, 0x67
	s_branch .LBB16_15
.LBB16_13:                              ;   in Loop: Header=BB16_15 Depth=1
	s_or_b64 exec, exec, s[26:27]
.LBB16_14:                              ;   in Loop: Header=BB16_15 Depth=1
	s_or_b64 exec, exec, s[24:25]
	v_add_u32_e32 v6, 1, v6
	v_cmp_ge_i32_e32 vcc, v6, v4
	s_xor_b64 s[2:3], s[2:3], -1
	s_or_b64 s[2:3], s[2:3], vcc
	s_and_b64 s[2:3], exec, s[2:3]
	s_or_b64 s[10:11], s[2:3], s[10:11]
	s_andn2_b64 exec, exec, s[10:11]
	s_cbranch_execz .LBB16_32
.LBB16_15:                              ; =>This Loop Header: Depth=1
                                        ;     Child Loop BB16_16 Depth 2
                                        ;     Child Loop BB16_22 Depth 2
                                        ;       Child Loop BB16_25 Depth 3
	v_ashrrev_i32_e32 v7, 31, v6
	v_lshlrev_b64 v[10:11], 2, v[6:7]
	v_add_co_u32_e32 v10, vcc, s18, v10
	v_addc_co_u32_e32 v11, vcc, v25, v11, vcc
	global_load_dword v14, v[10:11], off
	v_lshlrev_b64 v[10:11], 3, v[6:7]
	v_add_co_u32_e32 v10, vcc, s20, v10
	v_addc_co_u32_e32 v11, vcc, v26, v11, vcc
	global_load_dwordx2 v[12:13], v[10:11], off
	s_mov_b64 s[2:3], 0
	s_waitcnt vmcnt(1)
	v_subrev_u32_e32 v14, s33, v14
	v_ashrrev_i32_e32 v15, 31, v14
	v_lshlrev_b64 v[14:15], 2, v[14:15]
	v_add_co_u32_e32 v18, vcc, s16, v14
	v_addc_co_u32_e32 v19, vcc, v27, v15, vcc
	v_add_co_u32_e32 v20, vcc, s22, v14
	v_addc_co_u32_e32 v21, vcc, v28, v15, vcc
	global_load_dword v7, v[18:19], off
	global_load_dword v16, v[20:21], off
	v_add_co_u32_e32 v14, vcc, s8, v14
	v_addc_co_u32_e32 v15, vcc, v29, v15, vcc
.LBB16_16:                              ;   Parent Loop BB16_15 Depth=1
                                        ; =>  This Inner Loop Header: Depth=2
	global_load_dword v17, v[14:15], off glc
	s_waitcnt vmcnt(0)
	v_cmp_ne_u32_e32 vcc, 0, v17
	s_or_b64 s[2:3], vcc, s[2:3]
	s_andn2_b64 exec, exec, s[2:3]
	s_cbranch_execnz .LBB16_16
; %bb.17:                               ;   in Loop: Header=BB16_15 Depth=1
	s_or_b64 exec, exec, s[2:3]
	v_cmp_eq_u32_e32 vcc, -1, v16
	v_cndmask_b32_e32 v16, v16, v23, vcc
	v_ashrrev_i32_e32 v17, 31, v16
	v_lshlrev_b64 v[14:15], 3, v[16:17]
	v_add_co_u32_e32 v14, vcc, s20, v14
	v_addc_co_u32_e32 v15, vcc, v26, v15, vcc
	buffer_wbinvl1_vol
	global_load_dwordx2 v[14:15], v[14:15], off
	s_waitcnt vmcnt(0)
	v_cmp_neq_f64_e64 s[2:3], 0, v[14:15]
	s_and_saveexec_b64 s[24:25], s[2:3]
	s_cbranch_execz .LBB16_14
; %bb.18:                               ;   in Loop: Header=BB16_15 Depth=1
	v_add_u32_e32 v20, v24, v7
	v_cmp_lt_i32_e32 vcc, v20, v16
	v_pk_mov_b32 v[18:19], 0, 0
	s_and_saveexec_b64 s[26:27], vcc
	s_cbranch_execz .LBB16_30
; %bb.19:                               ;   in Loop: Header=BB16_15 Depth=1
	s_mov_b64 s[28:29], 0
	v_pk_mov_b32 v[18:19], 0, 0
	s_branch .LBB16_22
.LBB16_20:                              ;   in Loop: Header=BB16_22 Depth=2
	s_or_b64 exec, exec, s[34:35]
.LBB16_21:                              ;   in Loop: Header=BB16_22 Depth=2
	s_or_b64 exec, exec, s[30:31]
	v_add_u32_e32 v20, 32, v20
	v_cmp_ge_i32_e32 vcc, v20, v16
	s_or_b64 s[28:29], vcc, s[28:29]
	s_andn2_b64 exec, exec, s[28:29]
	s_cbranch_execz .LBB16_29
.LBB16_22:                              ;   Parent Loop BB16_15 Depth=1
                                        ; =>  This Loop Header: Depth=2
                                        ;       Child Loop BB16_25 Depth 3
	v_ashrrev_i32_e32 v21, 31, v20
	v_lshlrev_b64 v[30:31], 2, v[20:21]
	v_add_co_u32_e32 v30, vcc, s18, v30
	v_addc_co_u32_e32 v31, vcc, v25, v31, vcc
	global_load_dword v7, v[30:31], off
	s_waitcnt vmcnt(0)
	v_mul_lo_u32 v17, v7, s17
	v_and_b32_e32 v31, 0x7f, v17
	v_lshl_add_u32 v17, v31, 2, v22
	ds_read_b32 v30, v17
	s_waitcnt lgkmcnt(0)
	v_cmp_ne_u32_e32 vcc, -1, v30
	s_and_saveexec_b64 s[30:31], vcc
	s_cbranch_execz .LBB16_21
; %bb.23:                               ;   in Loop: Header=BB16_22 Depth=2
	s_mov_b64 s[34:35], 0
                                        ; implicit-def: $sgpr36_sgpr37
                                        ; implicit-def: $sgpr40_sgpr41
                                        ; implicit-def: $sgpr38_sgpr39
	s_branch .LBB16_25
.LBB16_24:                              ;   in Loop: Header=BB16_25 Depth=3
	s_or_b64 exec, exec, s[42:43]
	s_and_b64 s[42:43], exec, s[40:41]
	s_or_b64 s[34:35], s[42:43], s[34:35]
	s_andn2_b64 s[36:37], s[36:37], exec
	s_and_b64 s[42:43], s[38:39], exec
	s_or_b64 s[36:37], s[36:37], s[42:43]
	s_andn2_b64 exec, exec, s[34:35]
	s_cbranch_execz .LBB16_27
.LBB16_25:                              ;   Parent Loop BB16_15 Depth=1
                                        ;     Parent Loop BB16_22 Depth=2
                                        ; =>    This Inner Loop Header: Depth=3
	v_mov_b32_e32 v17, v31
	v_cmp_ne_u32_e32 vcc, v30, v7
	s_or_b64 s[38:39], s[38:39], exec
	s_or_b64 s[40:41], s[40:41], exec
                                        ; implicit-def: $vgpr31
                                        ; implicit-def: $vgpr30
	s_and_saveexec_b64 s[42:43], vcc
	s_cbranch_execz .LBB16_24
; %bb.26:                               ;   in Loop: Header=BB16_25 Depth=3
	v_add_u32_e32 v30, 1, v17
	v_and_b32_e32 v31, 0x7f, v30
	v_lshl_add_u32 v30, v31, 2, v22
	ds_read_b32 v30, v30
	s_andn2_b64 s[40:41], s[40:41], exec
	s_andn2_b64 s[38:39], s[38:39], exec
	s_waitcnt lgkmcnt(0)
	v_cmp_eq_u32_e32 vcc, -1, v30
	s_and_b64 s[44:45], vcc, exec
	s_or_b64 s[40:41], s[40:41], s[44:45]
	s_branch .LBB16_24
.LBB16_27:                              ;   in Loop: Header=BB16_22 Depth=2
	s_or_b64 exec, exec, s[34:35]
	s_and_saveexec_b64 s[34:35], s[36:37]
	s_xor_b64 s[34:35], exec, s[34:35]
	s_cbranch_execz .LBB16_20
; %bb.28:                               ;   in Loop: Header=BB16_22 Depth=2
	v_lshl_add_u32 v7, v17, 2, v3
	ds_read_b32 v30, v7
	v_lshlrev_b64 v[32:33], 3, v[20:21]
	v_mov_b32_e32 v7, s21
	v_add_co_u32_e32 v32, vcc, s20, v32
	s_waitcnt lgkmcnt(0)
	v_ashrrev_i32_e32 v31, 31, v30
	v_addc_co_u32_e32 v33, vcc, v7, v33, vcc
	v_lshlrev_b64 v[30:31], 3, v[30:31]
	v_add_co_u32_e32 v30, vcc, s20, v30
	v_addc_co_u32_e32 v31, vcc, v7, v31, vcc
	global_load_dwordx2 v[34:35], v[32:33], off
	global_load_dwordx2 v[36:37], v[30:31], off
	s_waitcnt vmcnt(0)
	v_fmac_f64_e32 v[18:19], v[34:35], v[36:37]
	s_branch .LBB16_20
.LBB16_29:                              ;   in Loop: Header=BB16_15 Depth=1
	s_or_b64 exec, exec, s[28:29]
.LBB16_30:                              ;   in Loop: Header=BB16_15 Depth=1
	s_or_b64 exec, exec, s[26:27]
	v_mov_b32_dpp v16, v18 row_shr:1 row_mask:0xf bank_mask:0xf
	v_mov_b32_dpp v17, v19 row_shr:1 row_mask:0xf bank_mask:0xf
	v_add_f64 v[16:17], v[18:19], v[16:17]
	s_nop 1
	v_mov_b32_dpp v18, v16 row_shr:2 row_mask:0xf bank_mask:0xf
	v_mov_b32_dpp v19, v17 row_shr:2 row_mask:0xf bank_mask:0xf
	v_add_f64 v[16:17], v[16:17], v[18:19]
	s_nop 1
	;; [unrolled: 4-line block ×4, first 2 shown]
	v_mov_b32_dpp v18, v16 row_bcast:15 row_mask:0xa bank_mask:0xf
	v_mov_b32_dpp v19, v17 row_bcast:15 row_mask:0xa bank_mask:0xf
	s_and_saveexec_b64 s[26:27], s[0:1]
	s_cbranch_execz .LBB16_13
; %bb.31:                               ;   in Loop: Header=BB16_15 Depth=1
	v_div_scale_f64 v[20:21], s[28:29], v[14:15], v[14:15], 1.0
	v_rcp_f64_e32 v[30:31], v[20:21]
	v_div_scale_f64 v[32:33], vcc, 1.0, v[14:15], 1.0
	v_add_f64 v[16:17], v[16:17], v[18:19]
	v_fma_f64 v[34:35], -v[20:21], v[30:31], 1.0
	v_fmac_f64_e32 v[30:31], v[30:31], v[34:35]
	v_fma_f64 v[34:35], -v[20:21], v[30:31], 1.0
	v_fmac_f64_e32 v[30:31], v[30:31], v[34:35]
	v_mul_f64 v[34:35], v[32:33], v[30:31]
	v_fma_f64 v[20:21], -v[20:21], v[34:35], v[32:33]
	v_div_fmas_f64 v[20:21], v[20:21], v[30:31], v[34:35]
	v_div_fixup_f64 v[14:15], v[20:21], v[14:15], 1.0
	v_add_f64 v[12:13], v[12:13], -v[16:17]
	v_mul_f64 v[12:13], v[14:15], v[12:13]
	v_fmac_f64_e32 v[8:9], v[12:13], v[12:13]
	global_store_dwordx2 v[10:11], v[12:13], off
	s_branch .LBB16_13
.LBB16_32:
	s_or_b64 exec, exec, s[10:11]
.LBB16_33:
	s_or_b64 exec, exec, s[6:7]
	v_cmp_eq_u32_e32 vcc, 31, v5
	v_cmp_lt_i32_e64 s[0:1], -1, v4
	s_and_b64 s[0:1], vcc, s[0:1]
	s_and_saveexec_b64 s[2:3], s[0:1]
	s_cbranch_execz .LBB16_44
; %bb.34:
	v_mov_b32_e32 v5, 0
	v_lshlrev_b64 v[4:5], 3, v[4:5]
	v_mov_b32_e32 v3, s21
	v_add_co_u32_e64 v4, s[0:1], s20, v4
	v_addc_co_u32_e64 v5, s[0:1], v3, v5, s[0:1]
	global_load_dwordx2 v[6:7], v[4:5], off
	s_load_dwordx2 s[0:1], s[4:5], 0x48
	v_add_u32_e32 v2, s33, v2
	s_waitcnt lgkmcnt(0)
	v_mul_f64 v[10:11], s[0:1], s[0:1]
	s_waitcnt vmcnt(0)
	v_add_f64 v[6:7], v[6:7], -v[8:9]
	v_cmp_le_f64_e64 s[0:1], v[6:7], v[10:11]
	s_and_saveexec_b64 s[4:5], s[0:1]
	s_cbranch_execz .LBB16_39
; %bb.35:
	s_mov_b64 s[0:1], exec
	s_brev_b32 s6, -2
.LBB16_36:                              ; =>This Inner Loop Header: Depth=1
	s_ff1_i32_b64 s7, s[0:1]
	v_readlane_b32 s16, v2, s7
	s_lshl_b64 s[10:11], 1, s7
	s_min_i32 s6, s6, s16
	s_andn2_b64 s[0:1], s[0:1], s[10:11]
	s_cmp_lg_u64 s[0:1], 0
	s_cbranch_scc1 .LBB16_36
; %bb.37:
	v_mbcnt_lo_u32_b32 v3, exec_lo, 0
	v_mbcnt_hi_u32_b32 v3, exec_hi, v3
	v_cmp_eq_u32_e64 s[0:1], 0, v3
	s_and_saveexec_b64 s[10:11], s[0:1]
	s_xor_b64 s[10:11], exec, s[10:11]
	s_cbranch_execz .LBB16_39
; %bb.38:
	v_mov_b32_e32 v3, 0
	v_mov_b32_e32 v8, s6
	global_atomic_smin v3, v8, s[14:15]
.LBB16_39:
	s_or_b64 exec, exec, s[4:5]
	v_xor_b32_e32 v3, 0x80000000, v7
	v_cmp_gt_f64_e64 s[0:1], 0, v[6:7]
	v_cndmask_b32_e64 v7, v7, v3, s[0:1]
	v_cndmask_b32_e64 v6, v6, v6, s[0:1]
	s_mov_b32 s0, 0
	s_brev_b32 s1, 8
	v_cmp_gt_f64_e64 s[0:1], s[0:1], v[6:7]
	v_cndmask_b32_e64 v3, 0, 1, s[0:1]
	v_lshlrev_b32_e32 v3, 8, v3
	v_ldexp_f64 v[6:7], v[6:7], v3
	v_rsq_f64_e32 v[8:9], v[6:7]
	v_mov_b32_e32 v3, 0xffffff80
	v_cndmask_b32_e64 v3, 0, v3, s[0:1]
	v_mul_f64 v[10:11], v[6:7], v[8:9]
	v_mul_f64 v[8:9], v[8:9], 0.5
	v_fma_f64 v[12:13], -v[8:9], v[10:11], 0.5
	v_fmac_f64_e32 v[10:11], v[10:11], v[12:13]
	v_fma_f64 v[14:15], -v[10:11], v[10:11], v[6:7]
	v_fmac_f64_e32 v[8:9], v[8:9], v[12:13]
	v_fmac_f64_e32 v[10:11], v[14:15], v[8:9]
	v_fma_f64 v[12:13], -v[10:11], v[10:11], v[6:7]
	v_fmac_f64_e32 v[10:11], v[12:13], v[8:9]
	v_ldexp_f64 v[8:9], v[10:11], v3
	v_mov_b32_e32 v3, 0x260
	v_cmp_class_f64_e64 s[0:1], v[6:7], v3
	v_cndmask_b32_e64 v7, v9, v7, s[0:1]
	v_cndmask_b32_e64 v6, v8, v6, s[0:1]
	v_cmp_eq_f64_e64 s[0:1], 0, v[6:7]
	global_store_dwordx2 v[4:5], v[6:7], off
	s_and_b64 exec, exec, s[0:1]
	s_cbranch_execz .LBB16_44
; %bb.40:
	s_mov_b64 s[0:1], exec
	s_brev_b32 s4, -2
.LBB16_41:                              ; =>This Inner Loop Header: Depth=1
	s_ff1_i32_b64 s5, s[0:1]
	v_readlane_b32 s10, v2, s5
	s_lshl_b64 s[6:7], 1, s5
	s_min_i32 s4, s4, s10
	s_andn2_b64 s[0:1], s[0:1], s[6:7]
	s_cmp_lg_u64 s[0:1], 0
	s_cbranch_scc1 .LBB16_41
; %bb.42:
	v_mbcnt_lo_u32_b32 v2, exec_lo, 0
	v_mbcnt_hi_u32_b32 v2, exec_hi, v2
	v_cmp_eq_u32_e64 s[0:1], 0, v2
	s_and_saveexec_b64 s[6:7], s[0:1]
	s_xor_b64 s[6:7], exec, s[6:7]
	s_cbranch_execz .LBB16_44
; %bb.43:
	v_mov_b32_e32 v2, 0
	v_mov_b32_e32 v3, s4
	global_atomic_smin v2, v3, s[12:13]
.LBB16_44:
	s_or_b64 exec, exec, s[2:3]
	s_and_b64 exec, exec, vcc
	s_cbranch_execz .LBB16_46
; %bb.45:
	v_mov_b32_e32 v2, s9
	v_add_co_u32_e32 v0, vcc, s8, v0
	v_addc_co_u32_e32 v1, vcc, v2, v1, vcc
	v_mov_b32_e32 v2, 1
	s_waitcnt vmcnt(0)
	global_store_dword v[0:1], v2, off
.LBB16_46:
	s_endpgm
	.section	.rodata,"a",@progbits
	.p2align	6, 0x0
	.amdhsa_kernel _ZN9rocsparseL18csric0_hash_kernelILj256ELj32ELj4EdEEviPKiS2_PT2_S2_PiS2_S5_S5_d21rocsparse_index_base_
		.amdhsa_group_segment_fixed_size 8192
		.amdhsa_private_segment_fixed_size 0
		.amdhsa_kernarg_size 84
		.amdhsa_user_sgpr_count 6
		.amdhsa_user_sgpr_private_segment_buffer 1
		.amdhsa_user_sgpr_dispatch_ptr 0
		.amdhsa_user_sgpr_queue_ptr 0
		.amdhsa_user_sgpr_kernarg_segment_ptr 1
		.amdhsa_user_sgpr_dispatch_id 0
		.amdhsa_user_sgpr_flat_scratch_init 0
		.amdhsa_user_sgpr_kernarg_preload_length 0
		.amdhsa_user_sgpr_kernarg_preload_offset 0
		.amdhsa_user_sgpr_private_segment_size 0
		.amdhsa_uses_dynamic_stack 0
		.amdhsa_system_sgpr_private_segment_wavefront_offset 0
		.amdhsa_system_sgpr_workgroup_id_x 1
		.amdhsa_system_sgpr_workgroup_id_y 0
		.amdhsa_system_sgpr_workgroup_id_z 0
		.amdhsa_system_sgpr_workgroup_info 0
		.amdhsa_system_vgpr_workitem_id 0
		.amdhsa_next_free_vgpr 38
		.amdhsa_next_free_sgpr 46
		.amdhsa_accum_offset 40
		.amdhsa_reserve_vcc 1
		.amdhsa_reserve_flat_scratch 0
		.amdhsa_float_round_mode_32 0
		.amdhsa_float_round_mode_16_64 0
		.amdhsa_float_denorm_mode_32 3
		.amdhsa_float_denorm_mode_16_64 3
		.amdhsa_dx10_clamp 1
		.amdhsa_ieee_mode 1
		.amdhsa_fp16_overflow 0
		.amdhsa_tg_split 0
		.amdhsa_exception_fp_ieee_invalid_op 0
		.amdhsa_exception_fp_denorm_src 0
		.amdhsa_exception_fp_ieee_div_zero 0
		.amdhsa_exception_fp_ieee_overflow 0
		.amdhsa_exception_fp_ieee_underflow 0
		.amdhsa_exception_fp_ieee_inexact 0
		.amdhsa_exception_int_div_zero 0
	.end_amdhsa_kernel
	.section	.text._ZN9rocsparseL18csric0_hash_kernelILj256ELj32ELj4EdEEviPKiS2_PT2_S2_PiS2_S5_S5_d21rocsparse_index_base_,"axG",@progbits,_ZN9rocsparseL18csric0_hash_kernelILj256ELj32ELj4EdEEviPKiS2_PT2_S2_PiS2_S5_S5_d21rocsparse_index_base_,comdat
.Lfunc_end16:
	.size	_ZN9rocsparseL18csric0_hash_kernelILj256ELj32ELj4EdEEviPKiS2_PT2_S2_PiS2_S5_S5_d21rocsparse_index_base_, .Lfunc_end16-_ZN9rocsparseL18csric0_hash_kernelILj256ELj32ELj4EdEEviPKiS2_PT2_S2_PiS2_S5_S5_d21rocsparse_index_base_
                                        ; -- End function
	.section	.AMDGPU.csdata,"",@progbits
; Kernel info:
; codeLenInByte = 2064
; NumSgprs: 50
; NumVgprs: 38
; NumAgprs: 0
; TotalNumVgprs: 38
; ScratchSize: 0
; MemoryBound: 0
; FloatMode: 240
; IeeeMode: 1
; LDSByteSize: 8192 bytes/workgroup (compile time only)
; SGPRBlocks: 6
; VGPRBlocks: 4
; NumSGPRsForWavesPerEU: 50
; NumVGPRsForWavesPerEU: 38
; AccumOffset: 40
; Occupancy: 8
; WaveLimiterHint : 1
; COMPUTE_PGM_RSRC2:SCRATCH_EN: 0
; COMPUTE_PGM_RSRC2:USER_SGPR: 6
; COMPUTE_PGM_RSRC2:TRAP_HANDLER: 0
; COMPUTE_PGM_RSRC2:TGID_X_EN: 1
; COMPUTE_PGM_RSRC2:TGID_Y_EN: 0
; COMPUTE_PGM_RSRC2:TGID_Z_EN: 0
; COMPUTE_PGM_RSRC2:TIDIG_COMP_CNT: 0
; COMPUTE_PGM_RSRC3_GFX90A:ACCUM_OFFSET: 9
; COMPUTE_PGM_RSRC3_GFX90A:TG_SPLIT: 0
	.section	.text._ZN9rocsparseL18csric0_hash_kernelILj256ELj32ELj8EdEEviPKiS2_PT2_S2_PiS2_S5_S5_d21rocsparse_index_base_,"axG",@progbits,_ZN9rocsparseL18csric0_hash_kernelILj256ELj32ELj8EdEEviPKiS2_PT2_S2_PiS2_S5_S5_d21rocsparse_index_base_,comdat
	.globl	_ZN9rocsparseL18csric0_hash_kernelILj256ELj32ELj8EdEEviPKiS2_PT2_S2_PiS2_S5_S5_d21rocsparse_index_base_ ; -- Begin function _ZN9rocsparseL18csric0_hash_kernelILj256ELj32ELj8EdEEviPKiS2_PT2_S2_PiS2_S5_S5_d21rocsparse_index_base_
	.p2align	8
	.type	_ZN9rocsparseL18csric0_hash_kernelILj256ELj32ELj8EdEEviPKiS2_PT2_S2_PiS2_S5_S5_d21rocsparse_index_base_,@function
_ZN9rocsparseL18csric0_hash_kernelILj256ELj32ELj8EdEEviPKiS2_PT2_S2_PiS2_S5_S5_d21rocsparse_index_base_: ; @_ZN9rocsparseL18csric0_hash_kernelILj256ELj32ELj8EdEEviPKiS2_PT2_S2_PiS2_S5_S5_d21rocsparse_index_base_
; %bb.0:
	s_load_dword s0, s[4:5], 0x0
	v_lshlrev_b32_e32 v1, 3, v0
	s_lshl_b32 s1, s6, 3
	v_and_b32_e32 v5, 31, v0
	v_and_b32_e32 v6, 0x700, v1
	v_mov_b32_e32 v1, 0x2000
	v_lshrrev_b32_e32 v0, 5, v0
	s_and_b32 s1, s1, 0x7fffff8
	v_lshl_or_b32 v22, v6, 2, v1
	v_or_b32_e32 v0, s1, v0
	v_lshl_or_b32 v1, v5, 2, v22
	v_mov_b32_e32 v2, -1
	s_waitcnt lgkmcnt(0)
	v_cmp_gt_i32_e32 vcc, s0, v0
	ds_write2_b32 v1, v2, v2 offset1:32
	ds_write2_b32 v1, v2, v2 offset0:64 offset1:96
	ds_write2_b32 v1, v2, v2 offset0:128 offset1:160
	;; [unrolled: 1-line block ×3, first 2 shown]
	s_waitcnt lgkmcnt(0)
	s_and_saveexec_b64 s[0:1], vcc
	s_cbranch_execz .LBB17_46
; %bb.1:
	s_load_dwordx8 s[8:15], s[4:5], 0x28
	v_lshlrev_b32_e32 v0, 2, v0
	s_load_dwordx8 s[16:23], s[4:5], 0x8
	s_load_dword s33, s[4:5], 0x50
	s_waitcnt lgkmcnt(0)
	global_load_dword v2, v0, s[10:11]
	v_mov_b32_e32 v7, s17
	v_mov_b32_e32 v4, s23
	s_waitcnt vmcnt(0)
	v_ashrrev_i32_e32 v3, 31, v2
	v_lshlrev_b64 v[0:1], 2, v[2:3]
	v_add_co_u32_e32 v8, vcc, s16, v0
	v_addc_co_u32_e32 v9, vcc, v7, v1, vcc
	global_load_dwordx2 v[8:9], v[8:9], off
	v_add_co_u32_e32 v10, vcc, s22, v0
	v_addc_co_u32_e32 v11, vcc, v4, v1, vcc
	global_load_dword v4, v[10:11], off
	v_lshlrev_b32_e32 v3, 2, v6
	s_waitcnt vmcnt(1)
	v_subrev_u32_e32 v6, s33, v8
	v_subrev_u32_e32 v7, s33, v9
	v_add_u32_e32 v8, v6, v5
	v_cmp_lt_i32_e32 vcc, v8, v7
	s_and_saveexec_b64 s[0:1], vcc
	s_cbranch_execz .LBB17_11
; %bb.2:
	s_mov_b64 s[2:3], 0
	v_mov_b32_e32 v10, s19
	s_movk_i32 s34, 0x67
	v_mov_b32_e32 v11, -1
	s_branch .LBB17_4
.LBB17_3:                               ;   in Loop: Header=BB17_4 Depth=1
	s_or_b64 exec, exec, s[6:7]
	v_add_u32_e32 v8, 32, v8
	v_cmp_ge_i32_e32 vcc, v8, v7
	s_or_b64 s[2:3], vcc, s[2:3]
	s_andn2_b64 exec, exec, s[2:3]
	s_cbranch_execz .LBB17_11
.LBB17_4:                               ; =>This Loop Header: Depth=1
                                        ;     Child Loop BB17_7 Depth 2
	v_ashrrev_i32_e32 v9, 31, v8
	v_lshlrev_b64 v[12:13], 2, v[8:9]
	v_add_co_u32_e32 v12, vcc, s18, v12
	v_addc_co_u32_e32 v13, vcc, v10, v13, vcc
	global_load_dword v9, v[12:13], off
	s_waitcnt vmcnt(0)
	v_mul_lo_u32 v12, v9, s34
	v_and_b32_e32 v12, 0xff, v12
	v_lshl_add_u32 v13, v12, 2, v22
	ds_read_b32 v14, v13
	s_waitcnt lgkmcnt(0)
	v_cmp_ne_u32_e32 vcc, v14, v9
	s_and_saveexec_b64 s[6:7], vcc
	s_cbranch_execz .LBB17_3
; %bb.5:                                ;   in Loop: Header=BB17_4 Depth=1
	s_mov_b64 s[10:11], 0
                                        ; implicit-def: $sgpr24_sgpr25
                                        ; implicit-def: $sgpr28_sgpr29
                                        ; implicit-def: $sgpr26_sgpr27
	s_branch .LBB17_7
.LBB17_6:                               ;   in Loop: Header=BB17_7 Depth=2
	s_or_b64 exec, exec, s[30:31]
	s_and_b64 s[30:31], exec, s[28:29]
	s_or_b64 s[10:11], s[30:31], s[10:11]
	s_andn2_b64 s[24:25], s[24:25], exec
	s_and_b64 s[30:31], s[26:27], exec
	s_or_b64 s[24:25], s[24:25], s[30:31]
	s_andn2_b64 exec, exec, s[10:11]
	s_cbranch_execz .LBB17_9
.LBB17_7:                               ;   Parent Loop BB17_4 Depth=1
                                        ; =>  This Inner Loop Header: Depth=2
	ds_cmpst_rtn_b32 v13, v13, v11, v9
	v_mov_b32_e32 v14, v12
	s_or_b64 s[26:27], s[26:27], exec
	s_or_b64 s[28:29], s[28:29], exec
                                        ; implicit-def: $vgpr12
	s_waitcnt lgkmcnt(0)
	v_cmp_ne_u32_e32 vcc, -1, v13
                                        ; implicit-def: $vgpr13
	s_and_saveexec_b64 s[30:31], vcc
	s_cbranch_execz .LBB17_6
; %bb.8:                                ;   in Loop: Header=BB17_7 Depth=2
	v_add_u32_e32 v12, 1, v14
	v_and_b32_e32 v12, 0xff, v12
	v_lshl_add_u32 v13, v12, 2, v22
	ds_read_b32 v15, v13
	s_andn2_b64 s[28:29], s[28:29], exec
	s_andn2_b64 s[26:27], s[26:27], exec
	s_waitcnt lgkmcnt(0)
	v_cmp_eq_u32_e32 vcc, v15, v9
	s_and_b64 s[36:37], vcc, exec
	s_or_b64 s[28:29], s[28:29], s[36:37]
	s_branch .LBB17_6
.LBB17_9:                               ;   in Loop: Header=BB17_4 Depth=1
	s_or_b64 exec, exec, s[10:11]
	s_and_saveexec_b64 s[10:11], s[24:25]
	s_xor_b64 s[10:11], exec, s[10:11]
	s_cbranch_execz .LBB17_3
; %bb.10:                               ;   in Loop: Header=BB17_4 Depth=1
	v_lshl_add_u32 v9, v14, 2, v3
	ds_write_b32 v9, v8
	s_branch .LBB17_3
.LBB17_11:
	s_or_b64 exec, exec, s[0:1]
	s_waitcnt vmcnt(0)
	v_cmp_lt_i32_e32 vcc, v6, v4
	v_pk_mov_b32 v[8:9], 0, 0
	s_waitcnt lgkmcnt(0)
	s_and_saveexec_b64 s[6:7], vcc
	s_cbranch_execz .LBB17_33
; %bb.12:
	v_add_u32_e32 v23, -1, v4
	v_subrev_u32_e32 v24, s33, v5
	v_cmp_eq_u32_e64 s[0:1], 31, v5
	s_mov_b64 s[10:11], 0
	v_pk_mov_b32 v[8:9], 0, 0
	v_mov_b32_e32 v25, s19
	v_mov_b32_e32 v26, s21
	;; [unrolled: 1-line block ×5, first 2 shown]
	s_movk_i32 s17, 0x67
	s_branch .LBB17_15
.LBB17_13:                              ;   in Loop: Header=BB17_15 Depth=1
	s_or_b64 exec, exec, s[26:27]
.LBB17_14:                              ;   in Loop: Header=BB17_15 Depth=1
	s_or_b64 exec, exec, s[24:25]
	v_add_u32_e32 v6, 1, v6
	v_cmp_ge_i32_e32 vcc, v6, v4
	s_xor_b64 s[2:3], s[2:3], -1
	s_or_b64 s[2:3], s[2:3], vcc
	s_and_b64 s[2:3], exec, s[2:3]
	s_or_b64 s[10:11], s[2:3], s[10:11]
	s_andn2_b64 exec, exec, s[10:11]
	s_cbranch_execz .LBB17_32
.LBB17_15:                              ; =>This Loop Header: Depth=1
                                        ;     Child Loop BB17_16 Depth 2
                                        ;     Child Loop BB17_22 Depth 2
                                        ;       Child Loop BB17_25 Depth 3
	v_ashrrev_i32_e32 v7, 31, v6
	v_lshlrev_b64 v[10:11], 2, v[6:7]
	v_add_co_u32_e32 v10, vcc, s18, v10
	v_addc_co_u32_e32 v11, vcc, v25, v11, vcc
	global_load_dword v14, v[10:11], off
	v_lshlrev_b64 v[10:11], 3, v[6:7]
	v_add_co_u32_e32 v10, vcc, s20, v10
	v_addc_co_u32_e32 v11, vcc, v26, v11, vcc
	global_load_dwordx2 v[12:13], v[10:11], off
	s_mov_b64 s[2:3], 0
	s_waitcnt vmcnt(1)
	v_subrev_u32_e32 v14, s33, v14
	v_ashrrev_i32_e32 v15, 31, v14
	v_lshlrev_b64 v[14:15], 2, v[14:15]
	v_add_co_u32_e32 v18, vcc, s16, v14
	v_addc_co_u32_e32 v19, vcc, v27, v15, vcc
	v_add_co_u32_e32 v20, vcc, s22, v14
	v_addc_co_u32_e32 v21, vcc, v28, v15, vcc
	global_load_dword v7, v[18:19], off
	global_load_dword v16, v[20:21], off
	v_add_co_u32_e32 v14, vcc, s8, v14
	v_addc_co_u32_e32 v15, vcc, v29, v15, vcc
.LBB17_16:                              ;   Parent Loop BB17_15 Depth=1
                                        ; =>  This Inner Loop Header: Depth=2
	global_load_dword v17, v[14:15], off glc
	s_waitcnt vmcnt(0)
	v_cmp_ne_u32_e32 vcc, 0, v17
	s_or_b64 s[2:3], vcc, s[2:3]
	s_andn2_b64 exec, exec, s[2:3]
	s_cbranch_execnz .LBB17_16
; %bb.17:                               ;   in Loop: Header=BB17_15 Depth=1
	s_or_b64 exec, exec, s[2:3]
	v_cmp_eq_u32_e32 vcc, -1, v16
	v_cndmask_b32_e32 v16, v16, v23, vcc
	v_ashrrev_i32_e32 v17, 31, v16
	v_lshlrev_b64 v[14:15], 3, v[16:17]
	v_add_co_u32_e32 v14, vcc, s20, v14
	v_addc_co_u32_e32 v15, vcc, v26, v15, vcc
	buffer_wbinvl1_vol
	global_load_dwordx2 v[14:15], v[14:15], off
	s_waitcnt vmcnt(0)
	v_cmp_neq_f64_e64 s[2:3], 0, v[14:15]
	s_and_saveexec_b64 s[24:25], s[2:3]
	s_cbranch_execz .LBB17_14
; %bb.18:                               ;   in Loop: Header=BB17_15 Depth=1
	v_add_u32_e32 v20, v24, v7
	v_cmp_lt_i32_e32 vcc, v20, v16
	v_pk_mov_b32 v[18:19], 0, 0
	s_and_saveexec_b64 s[26:27], vcc
	s_cbranch_execz .LBB17_30
; %bb.19:                               ;   in Loop: Header=BB17_15 Depth=1
	s_mov_b64 s[28:29], 0
	v_pk_mov_b32 v[18:19], 0, 0
	s_branch .LBB17_22
.LBB17_20:                              ;   in Loop: Header=BB17_22 Depth=2
	s_or_b64 exec, exec, s[34:35]
.LBB17_21:                              ;   in Loop: Header=BB17_22 Depth=2
	s_or_b64 exec, exec, s[30:31]
	v_add_u32_e32 v20, 32, v20
	v_cmp_ge_i32_e32 vcc, v20, v16
	s_or_b64 s[28:29], vcc, s[28:29]
	s_andn2_b64 exec, exec, s[28:29]
	s_cbranch_execz .LBB17_29
.LBB17_22:                              ;   Parent Loop BB17_15 Depth=1
                                        ; =>  This Loop Header: Depth=2
                                        ;       Child Loop BB17_25 Depth 3
	v_ashrrev_i32_e32 v21, 31, v20
	v_lshlrev_b64 v[30:31], 2, v[20:21]
	v_add_co_u32_e32 v30, vcc, s18, v30
	v_addc_co_u32_e32 v31, vcc, v25, v31, vcc
	global_load_dword v7, v[30:31], off
	s_waitcnt vmcnt(0)
	v_mul_lo_u32 v17, v7, s17
	v_and_b32_e32 v31, 0xff, v17
	v_lshl_add_u32 v17, v31, 2, v22
	ds_read_b32 v30, v17
	s_waitcnt lgkmcnt(0)
	v_cmp_ne_u32_e32 vcc, -1, v30
	s_and_saveexec_b64 s[30:31], vcc
	s_cbranch_execz .LBB17_21
; %bb.23:                               ;   in Loop: Header=BB17_22 Depth=2
	s_mov_b64 s[34:35], 0
                                        ; implicit-def: $sgpr36_sgpr37
                                        ; implicit-def: $sgpr40_sgpr41
                                        ; implicit-def: $sgpr38_sgpr39
	s_branch .LBB17_25
.LBB17_24:                              ;   in Loop: Header=BB17_25 Depth=3
	s_or_b64 exec, exec, s[42:43]
	s_and_b64 s[42:43], exec, s[40:41]
	s_or_b64 s[34:35], s[42:43], s[34:35]
	s_andn2_b64 s[36:37], s[36:37], exec
	s_and_b64 s[42:43], s[38:39], exec
	s_or_b64 s[36:37], s[36:37], s[42:43]
	s_andn2_b64 exec, exec, s[34:35]
	s_cbranch_execz .LBB17_27
.LBB17_25:                              ;   Parent Loop BB17_15 Depth=1
                                        ;     Parent Loop BB17_22 Depth=2
                                        ; =>    This Inner Loop Header: Depth=3
	v_mov_b32_e32 v17, v31
	v_cmp_ne_u32_e32 vcc, v30, v7
	s_or_b64 s[38:39], s[38:39], exec
	s_or_b64 s[40:41], s[40:41], exec
                                        ; implicit-def: $vgpr31
                                        ; implicit-def: $vgpr30
	s_and_saveexec_b64 s[42:43], vcc
	s_cbranch_execz .LBB17_24
; %bb.26:                               ;   in Loop: Header=BB17_25 Depth=3
	v_add_u32_e32 v30, 1, v17
	v_and_b32_e32 v31, 0xff, v30
	v_lshl_add_u32 v30, v31, 2, v22
	ds_read_b32 v30, v30
	s_andn2_b64 s[40:41], s[40:41], exec
	s_andn2_b64 s[38:39], s[38:39], exec
	s_waitcnt lgkmcnt(0)
	v_cmp_eq_u32_e32 vcc, -1, v30
	s_and_b64 s[44:45], vcc, exec
	s_or_b64 s[40:41], s[40:41], s[44:45]
	s_branch .LBB17_24
.LBB17_27:                              ;   in Loop: Header=BB17_22 Depth=2
	s_or_b64 exec, exec, s[34:35]
	s_and_saveexec_b64 s[34:35], s[36:37]
	s_xor_b64 s[34:35], exec, s[34:35]
	s_cbranch_execz .LBB17_20
; %bb.28:                               ;   in Loop: Header=BB17_22 Depth=2
	v_lshl_add_u32 v7, v17, 2, v3
	ds_read_b32 v30, v7
	v_lshlrev_b64 v[32:33], 3, v[20:21]
	v_add_co_u32_e32 v32, vcc, s20, v32
	v_addc_co_u32_e32 v33, vcc, v26, v33, vcc
	s_waitcnt lgkmcnt(0)
	v_ashrrev_i32_e32 v31, 31, v30
	v_lshlrev_b64 v[30:31], 3, v[30:31]
	v_add_co_u32_e32 v30, vcc, s20, v30
	v_addc_co_u32_e32 v31, vcc, v26, v31, vcc
	global_load_dwordx2 v[34:35], v[32:33], off
	global_load_dwordx2 v[36:37], v[30:31], off
	s_waitcnt vmcnt(0)
	v_fmac_f64_e32 v[18:19], v[34:35], v[36:37]
	s_branch .LBB17_20
.LBB17_29:                              ;   in Loop: Header=BB17_15 Depth=1
	s_or_b64 exec, exec, s[28:29]
.LBB17_30:                              ;   in Loop: Header=BB17_15 Depth=1
	s_or_b64 exec, exec, s[26:27]
	v_mov_b32_dpp v16, v18 row_shr:1 row_mask:0xf bank_mask:0xf
	v_mov_b32_dpp v17, v19 row_shr:1 row_mask:0xf bank_mask:0xf
	v_add_f64 v[16:17], v[18:19], v[16:17]
	s_nop 1
	v_mov_b32_dpp v18, v16 row_shr:2 row_mask:0xf bank_mask:0xf
	v_mov_b32_dpp v19, v17 row_shr:2 row_mask:0xf bank_mask:0xf
	v_add_f64 v[16:17], v[16:17], v[18:19]
	s_nop 1
	;; [unrolled: 4-line block ×4, first 2 shown]
	v_mov_b32_dpp v18, v16 row_bcast:15 row_mask:0xa bank_mask:0xf
	v_mov_b32_dpp v19, v17 row_bcast:15 row_mask:0xa bank_mask:0xf
	s_and_saveexec_b64 s[26:27], s[0:1]
	s_cbranch_execz .LBB17_13
; %bb.31:                               ;   in Loop: Header=BB17_15 Depth=1
	v_div_scale_f64 v[20:21], s[28:29], v[14:15], v[14:15], 1.0
	v_rcp_f64_e32 v[30:31], v[20:21]
	v_div_scale_f64 v[32:33], vcc, 1.0, v[14:15], 1.0
	v_add_f64 v[16:17], v[16:17], v[18:19]
	v_fma_f64 v[34:35], -v[20:21], v[30:31], 1.0
	v_fmac_f64_e32 v[30:31], v[30:31], v[34:35]
	v_fma_f64 v[34:35], -v[20:21], v[30:31], 1.0
	v_fmac_f64_e32 v[30:31], v[30:31], v[34:35]
	v_mul_f64 v[34:35], v[32:33], v[30:31]
	v_fma_f64 v[20:21], -v[20:21], v[34:35], v[32:33]
	v_div_fmas_f64 v[20:21], v[20:21], v[30:31], v[34:35]
	v_div_fixup_f64 v[14:15], v[20:21], v[14:15], 1.0
	v_add_f64 v[12:13], v[12:13], -v[16:17]
	v_mul_f64 v[12:13], v[14:15], v[12:13]
	v_fmac_f64_e32 v[8:9], v[12:13], v[12:13]
	global_store_dwordx2 v[10:11], v[12:13], off
	s_branch .LBB17_13
.LBB17_32:
	s_or_b64 exec, exec, s[10:11]
.LBB17_33:
	s_or_b64 exec, exec, s[6:7]
	v_cmp_eq_u32_e32 vcc, 31, v5
	v_cmp_lt_i32_e64 s[0:1], -1, v4
	s_and_b64 s[0:1], vcc, s[0:1]
	s_and_saveexec_b64 s[2:3], s[0:1]
	s_cbranch_execz .LBB17_44
; %bb.34:
	v_mov_b32_e32 v5, 0
	v_lshlrev_b64 v[4:5], 3, v[4:5]
	v_mov_b32_e32 v3, s21
	v_add_co_u32_e64 v4, s[0:1], s20, v4
	v_addc_co_u32_e64 v5, s[0:1], v3, v5, s[0:1]
	global_load_dwordx2 v[6:7], v[4:5], off
	s_load_dwordx2 s[0:1], s[4:5], 0x48
	v_add_u32_e32 v2, s33, v2
	s_waitcnt lgkmcnt(0)
	v_mul_f64 v[10:11], s[0:1], s[0:1]
	s_waitcnt vmcnt(0)
	v_add_f64 v[6:7], v[6:7], -v[8:9]
	v_cmp_le_f64_e64 s[0:1], v[6:7], v[10:11]
	s_and_saveexec_b64 s[4:5], s[0:1]
	s_cbranch_execz .LBB17_39
; %bb.35:
	s_mov_b64 s[0:1], exec
	s_brev_b32 s6, -2
.LBB17_36:                              ; =>This Inner Loop Header: Depth=1
	s_ff1_i32_b64 s7, s[0:1]
	v_readlane_b32 s16, v2, s7
	s_lshl_b64 s[10:11], 1, s7
	s_min_i32 s6, s6, s16
	s_andn2_b64 s[0:1], s[0:1], s[10:11]
	s_cmp_lg_u64 s[0:1], 0
	s_cbranch_scc1 .LBB17_36
; %bb.37:
	v_mbcnt_lo_u32_b32 v3, exec_lo, 0
	v_mbcnt_hi_u32_b32 v3, exec_hi, v3
	v_cmp_eq_u32_e64 s[0:1], 0, v3
	s_and_saveexec_b64 s[10:11], s[0:1]
	s_xor_b64 s[10:11], exec, s[10:11]
	s_cbranch_execz .LBB17_39
; %bb.38:
	v_mov_b32_e32 v3, 0
	v_mov_b32_e32 v8, s6
	global_atomic_smin v3, v8, s[14:15]
.LBB17_39:
	s_or_b64 exec, exec, s[4:5]
	v_xor_b32_e32 v3, 0x80000000, v7
	v_cmp_gt_f64_e64 s[0:1], 0, v[6:7]
	v_cndmask_b32_e64 v7, v7, v3, s[0:1]
	v_cndmask_b32_e64 v6, v6, v6, s[0:1]
	s_mov_b32 s0, 0
	s_brev_b32 s1, 8
	v_cmp_gt_f64_e64 s[0:1], s[0:1], v[6:7]
	v_cndmask_b32_e64 v3, 0, 1, s[0:1]
	v_lshlrev_b32_e32 v3, 8, v3
	v_ldexp_f64 v[6:7], v[6:7], v3
	v_rsq_f64_e32 v[8:9], v[6:7]
	v_mov_b32_e32 v3, 0xffffff80
	v_cndmask_b32_e64 v3, 0, v3, s[0:1]
	v_mul_f64 v[10:11], v[6:7], v[8:9]
	v_mul_f64 v[8:9], v[8:9], 0.5
	v_fma_f64 v[12:13], -v[8:9], v[10:11], 0.5
	v_fmac_f64_e32 v[10:11], v[10:11], v[12:13]
	v_fma_f64 v[14:15], -v[10:11], v[10:11], v[6:7]
	v_fmac_f64_e32 v[8:9], v[8:9], v[12:13]
	v_fmac_f64_e32 v[10:11], v[14:15], v[8:9]
	v_fma_f64 v[12:13], -v[10:11], v[10:11], v[6:7]
	v_fmac_f64_e32 v[10:11], v[12:13], v[8:9]
	v_ldexp_f64 v[8:9], v[10:11], v3
	v_mov_b32_e32 v3, 0x260
	v_cmp_class_f64_e64 s[0:1], v[6:7], v3
	v_cndmask_b32_e64 v7, v9, v7, s[0:1]
	v_cndmask_b32_e64 v6, v8, v6, s[0:1]
	v_cmp_eq_f64_e64 s[0:1], 0, v[6:7]
	global_store_dwordx2 v[4:5], v[6:7], off
	s_and_b64 exec, exec, s[0:1]
	s_cbranch_execz .LBB17_44
; %bb.40:
	s_mov_b64 s[0:1], exec
	s_brev_b32 s4, -2
.LBB17_41:                              ; =>This Inner Loop Header: Depth=1
	s_ff1_i32_b64 s5, s[0:1]
	v_readlane_b32 s10, v2, s5
	s_lshl_b64 s[6:7], 1, s5
	s_min_i32 s4, s4, s10
	s_andn2_b64 s[0:1], s[0:1], s[6:7]
	s_cmp_lg_u64 s[0:1], 0
	s_cbranch_scc1 .LBB17_41
; %bb.42:
	v_mbcnt_lo_u32_b32 v2, exec_lo, 0
	v_mbcnt_hi_u32_b32 v2, exec_hi, v2
	v_cmp_eq_u32_e64 s[0:1], 0, v2
	s_and_saveexec_b64 s[6:7], s[0:1]
	s_xor_b64 s[6:7], exec, s[6:7]
	s_cbranch_execz .LBB17_44
; %bb.43:
	v_mov_b32_e32 v2, 0
	v_mov_b32_e32 v3, s4
	global_atomic_smin v2, v3, s[12:13]
.LBB17_44:
	s_or_b64 exec, exec, s[2:3]
	s_and_b64 exec, exec, vcc
	s_cbranch_execz .LBB17_46
; %bb.45:
	v_mov_b32_e32 v2, s9
	v_add_co_u32_e32 v0, vcc, s8, v0
	v_addc_co_u32_e32 v1, vcc, v2, v1, vcc
	v_mov_b32_e32 v2, 1
	s_waitcnt vmcnt(0)
	global_store_dword v[0:1], v2, off
.LBB17_46:
	s_endpgm
	.section	.rodata,"a",@progbits
	.p2align	6, 0x0
	.amdhsa_kernel _ZN9rocsparseL18csric0_hash_kernelILj256ELj32ELj8EdEEviPKiS2_PT2_S2_PiS2_S5_S5_d21rocsparse_index_base_
		.amdhsa_group_segment_fixed_size 16384
		.amdhsa_private_segment_fixed_size 0
		.amdhsa_kernarg_size 84
		.amdhsa_user_sgpr_count 6
		.amdhsa_user_sgpr_private_segment_buffer 1
		.amdhsa_user_sgpr_dispatch_ptr 0
		.amdhsa_user_sgpr_queue_ptr 0
		.amdhsa_user_sgpr_kernarg_segment_ptr 1
		.amdhsa_user_sgpr_dispatch_id 0
		.amdhsa_user_sgpr_flat_scratch_init 0
		.amdhsa_user_sgpr_kernarg_preload_length 0
		.amdhsa_user_sgpr_kernarg_preload_offset 0
		.amdhsa_user_sgpr_private_segment_size 0
		.amdhsa_uses_dynamic_stack 0
		.amdhsa_system_sgpr_private_segment_wavefront_offset 0
		.amdhsa_system_sgpr_workgroup_id_x 1
		.amdhsa_system_sgpr_workgroup_id_y 0
		.amdhsa_system_sgpr_workgroup_id_z 0
		.amdhsa_system_sgpr_workgroup_info 0
		.amdhsa_system_vgpr_workitem_id 0
		.amdhsa_next_free_vgpr 38
		.amdhsa_next_free_sgpr 46
		.amdhsa_accum_offset 40
		.amdhsa_reserve_vcc 1
		.amdhsa_reserve_flat_scratch 0
		.amdhsa_float_round_mode_32 0
		.amdhsa_float_round_mode_16_64 0
		.amdhsa_float_denorm_mode_32 3
		.amdhsa_float_denorm_mode_16_64 3
		.amdhsa_dx10_clamp 1
		.amdhsa_ieee_mode 1
		.amdhsa_fp16_overflow 0
		.amdhsa_tg_split 0
		.amdhsa_exception_fp_ieee_invalid_op 0
		.amdhsa_exception_fp_denorm_src 0
		.amdhsa_exception_fp_ieee_div_zero 0
		.amdhsa_exception_fp_ieee_overflow 0
		.amdhsa_exception_fp_ieee_underflow 0
		.amdhsa_exception_fp_ieee_inexact 0
		.amdhsa_exception_int_div_zero 0
	.end_amdhsa_kernel
	.section	.text._ZN9rocsparseL18csric0_hash_kernelILj256ELj32ELj8EdEEviPKiS2_PT2_S2_PiS2_S5_S5_d21rocsparse_index_base_,"axG",@progbits,_ZN9rocsparseL18csric0_hash_kernelILj256ELj32ELj8EdEEviPKiS2_PT2_S2_PiS2_S5_S5_d21rocsparse_index_base_,comdat
.Lfunc_end17:
	.size	_ZN9rocsparseL18csric0_hash_kernelILj256ELj32ELj8EdEEviPKiS2_PT2_S2_PiS2_S5_S5_d21rocsparse_index_base_, .Lfunc_end17-_ZN9rocsparseL18csric0_hash_kernelILj256ELj32ELj8EdEEviPKiS2_PT2_S2_PiS2_S5_S5_d21rocsparse_index_base_
                                        ; -- End function
	.section	.AMDGPU.csdata,"",@progbits
; Kernel info:
; codeLenInByte = 2076
; NumSgprs: 50
; NumVgprs: 38
; NumAgprs: 0
; TotalNumVgprs: 38
; ScratchSize: 0
; MemoryBound: 0
; FloatMode: 240
; IeeeMode: 1
; LDSByteSize: 16384 bytes/workgroup (compile time only)
; SGPRBlocks: 6
; VGPRBlocks: 4
; NumSGPRsForWavesPerEU: 50
; NumVGPRsForWavesPerEU: 38
; AccumOffset: 40
; Occupancy: 4
; WaveLimiterHint : 1
; COMPUTE_PGM_RSRC2:SCRATCH_EN: 0
; COMPUTE_PGM_RSRC2:USER_SGPR: 6
; COMPUTE_PGM_RSRC2:TRAP_HANDLER: 0
; COMPUTE_PGM_RSRC2:TGID_X_EN: 1
; COMPUTE_PGM_RSRC2:TGID_Y_EN: 0
; COMPUTE_PGM_RSRC2:TGID_Z_EN: 0
; COMPUTE_PGM_RSRC2:TIDIG_COMP_CNT: 0
; COMPUTE_PGM_RSRC3_GFX90A:ACCUM_OFFSET: 9
; COMPUTE_PGM_RSRC3_GFX90A:TG_SPLIT: 0
	.section	.text._ZN9rocsparseL18csric0_hash_kernelILj256ELj32ELj16EdEEviPKiS2_PT2_S2_PiS2_S5_S5_d21rocsparse_index_base_,"axG",@progbits,_ZN9rocsparseL18csric0_hash_kernelILj256ELj32ELj16EdEEviPKiS2_PT2_S2_PiS2_S5_S5_d21rocsparse_index_base_,comdat
	.globl	_ZN9rocsparseL18csric0_hash_kernelILj256ELj32ELj16EdEEviPKiS2_PT2_S2_PiS2_S5_S5_d21rocsparse_index_base_ ; -- Begin function _ZN9rocsparseL18csric0_hash_kernelILj256ELj32ELj16EdEEviPKiS2_PT2_S2_PiS2_S5_S5_d21rocsparse_index_base_
	.p2align	8
	.type	_ZN9rocsparseL18csric0_hash_kernelILj256ELj32ELj16EdEEviPKiS2_PT2_S2_PiS2_S5_S5_d21rocsparse_index_base_,@function
_ZN9rocsparseL18csric0_hash_kernelILj256ELj32ELj16EdEEviPKiS2_PT2_S2_PiS2_S5_S5_d21rocsparse_index_base_: ; @_ZN9rocsparseL18csric0_hash_kernelILj256ELj32ELj16EdEEviPKiS2_PT2_S2_PiS2_S5_S5_d21rocsparse_index_base_
; %bb.0:
	s_load_dwordx8 s[16:23], s[4:5], 0x8
	s_load_dwordx8 s[8:15], s[4:5], 0x28
	v_and_b32_e32 v7, 31, v0
	v_lshrrev_b32_e32 v1, 5, v0
	v_lshlrev_b32_e32 v3, 11, v1
	v_lshlrev_b32_e32 v4, 2, v7
	s_movk_i32 s0, 0x4000
	v_or_b32_e32 v2, 0xffffffe0, v7
	v_or3_b32 v3, v3, v4, s0
	s_mov_b64 s[0:1], 0
	v_mov_b32_e32 v4, -1
	s_movk_i32 s2, 0x1df
.LBB18_1:                               ; =>This Inner Loop Header: Depth=1
	v_add_u32_e32 v2, 32, v2
	v_cmp_lt_u32_e32 vcc, s2, v2
	ds_write_b32 v3, v4
	s_or_b64 s[0:1], vcc, s[0:1]
	v_add_u32_e32 v3, 0x80, v3
	s_andn2_b64 exec, exec, s[0:1]
	s_cbranch_execnz .LBB18_1
; %bb.2:
	s_or_b64 exec, exec, s[0:1]
	s_load_dword s0, s[4:5], 0x0
	s_lshl_b32 s1, s6, 3
	s_and_b32 s1, s1, 0x7fffff8
	v_or_b32_e32 v1, s1, v1
	s_waitcnt lgkmcnt(0)
	v_cmp_gt_i32_e32 vcc, s0, v1
	s_and_saveexec_b64 s[0:1], vcc
	s_cbranch_execz .LBB18_48
; %bb.3:
	v_lshlrev_b32_e32 v1, 2, v1
	global_load_dword v4, v1, s[10:11]
	v_mov_b32_e32 v6, s17
	v_mov_b32_e32 v1, s23
	s_load_dword s33, s[4:5], 0x50
	v_lshlrev_b32_e32 v0, 6, v0
	s_waitcnt vmcnt(0)
	v_ashrrev_i32_e32 v5, 31, v4
	v_lshlrev_b64 v[2:3], 2, v[4:5]
	v_add_co_u32_e32 v8, vcc, s16, v2
	v_addc_co_u32_e32 v9, vcc, v6, v3, vcc
	global_load_dwordx2 v[8:9], v[8:9], off
	v_add_co_u32_e32 v10, vcc, s22, v2
	v_addc_co_u32_e32 v11, vcc, v1, v3, vcc
	global_load_dword v6, v[10:11], off
	v_and_b32_e32 v5, 0x3800, v0
	v_or_b32_e32 v22, 0x4000, v5
	s_waitcnt vmcnt(1) lgkmcnt(0)
	v_subrev_u32_e32 v0, s33, v8
	v_subrev_u32_e32 v1, s33, v9
	v_add_u32_e32 v8, v0, v7
	v_cmp_lt_i32_e32 vcc, v8, v1
	s_and_saveexec_b64 s[0:1], vcc
	s_cbranch_execz .LBB18_13
; %bb.4:
	s_mov_b64 s[2:3], 0
	v_mov_b32_e32 v10, s19
	s_movk_i32 s34, 0x67
	v_mov_b32_e32 v11, -1
	s_branch .LBB18_6
.LBB18_5:                               ;   in Loop: Header=BB18_6 Depth=1
	s_or_b64 exec, exec, s[6:7]
	v_add_u32_e32 v8, 32, v8
	v_cmp_ge_i32_e32 vcc, v8, v1
	s_or_b64 s[2:3], vcc, s[2:3]
	s_andn2_b64 exec, exec, s[2:3]
	s_cbranch_execz .LBB18_13
.LBB18_6:                               ; =>This Loop Header: Depth=1
                                        ;     Child Loop BB18_9 Depth 2
	v_ashrrev_i32_e32 v9, 31, v8
	v_lshlrev_b64 v[12:13], 2, v[8:9]
	v_add_co_u32_e32 v12, vcc, s18, v12
	v_addc_co_u32_e32 v13, vcc, v10, v13, vcc
	global_load_dword v9, v[12:13], off
	s_waitcnt vmcnt(0)
	v_mul_lo_u32 v12, v9, s34
	v_and_b32_e32 v12, 0x1ff, v12
	v_lshl_add_u32 v13, v12, 2, v22
	ds_read_b32 v14, v13
	s_waitcnt lgkmcnt(0)
	v_cmp_ne_u32_e32 vcc, v14, v9
	s_and_saveexec_b64 s[6:7], vcc
	s_cbranch_execz .LBB18_5
; %bb.7:                                ;   in Loop: Header=BB18_6 Depth=1
	s_mov_b64 s[10:11], 0
                                        ; implicit-def: $sgpr24_sgpr25
                                        ; implicit-def: $sgpr28_sgpr29
                                        ; implicit-def: $sgpr26_sgpr27
	s_branch .LBB18_9
.LBB18_8:                               ;   in Loop: Header=BB18_9 Depth=2
	s_or_b64 exec, exec, s[30:31]
	s_and_b64 s[30:31], exec, s[28:29]
	s_or_b64 s[10:11], s[30:31], s[10:11]
	s_andn2_b64 s[24:25], s[24:25], exec
	s_and_b64 s[30:31], s[26:27], exec
	s_or_b64 s[24:25], s[24:25], s[30:31]
	s_andn2_b64 exec, exec, s[10:11]
	s_cbranch_execz .LBB18_11
.LBB18_9:                               ;   Parent Loop BB18_6 Depth=1
                                        ; =>  This Inner Loop Header: Depth=2
	ds_cmpst_rtn_b32 v13, v13, v11, v9
	v_mov_b32_e32 v14, v12
	s_or_b64 s[26:27], s[26:27], exec
	s_or_b64 s[28:29], s[28:29], exec
                                        ; implicit-def: $vgpr12
	s_waitcnt lgkmcnt(0)
	v_cmp_ne_u32_e32 vcc, -1, v13
                                        ; implicit-def: $vgpr13
	s_and_saveexec_b64 s[30:31], vcc
	s_cbranch_execz .LBB18_8
; %bb.10:                               ;   in Loop: Header=BB18_9 Depth=2
	v_add_u32_e32 v12, 1, v14
	v_and_b32_e32 v12, 0x1ff, v12
	v_lshl_add_u32 v13, v12, 2, v22
	ds_read_b32 v15, v13
	s_andn2_b64 s[28:29], s[28:29], exec
	s_andn2_b64 s[26:27], s[26:27], exec
	s_waitcnt lgkmcnt(0)
	v_cmp_eq_u32_e32 vcc, v15, v9
	s_and_b64 s[36:37], vcc, exec
	s_or_b64 s[28:29], s[28:29], s[36:37]
	s_branch .LBB18_8
.LBB18_11:                              ;   in Loop: Header=BB18_6 Depth=1
	s_or_b64 exec, exec, s[10:11]
	s_and_saveexec_b64 s[10:11], s[24:25]
	s_xor_b64 s[10:11], exec, s[10:11]
	s_cbranch_execz .LBB18_5
; %bb.12:                               ;   in Loop: Header=BB18_6 Depth=1
	v_lshl_add_u32 v9, v14, 2, v5
	ds_write_b32 v9, v8
	s_branch .LBB18_5
.LBB18_13:
	s_or_b64 exec, exec, s[0:1]
	s_waitcnt vmcnt(0)
	v_cmp_lt_i32_e32 vcc, v0, v6
	v_pk_mov_b32 v[8:9], 0, 0
	s_waitcnt lgkmcnt(0)
	s_and_saveexec_b64 s[6:7], vcc
	s_cbranch_execz .LBB18_35
; %bb.14:
	v_add_u32_e32 v23, -1, v6
	v_subrev_u32_e32 v24, s33, v7
	v_cmp_eq_u32_e64 s[0:1], 31, v7
	s_mov_b64 s[10:11], 0
	v_pk_mov_b32 v[8:9], 0, 0
	v_mov_b32_e32 v25, s19
	v_mov_b32_e32 v26, s21
	;; [unrolled: 1-line block ×5, first 2 shown]
	s_movk_i32 s17, 0x67
	s_branch .LBB18_17
.LBB18_15:                              ;   in Loop: Header=BB18_17 Depth=1
	s_or_b64 exec, exec, s[26:27]
.LBB18_16:                              ;   in Loop: Header=BB18_17 Depth=1
	s_or_b64 exec, exec, s[24:25]
	v_add_u32_e32 v0, 1, v0
	v_cmp_ge_i32_e32 vcc, v0, v6
	s_xor_b64 s[2:3], s[2:3], -1
	s_or_b64 s[2:3], s[2:3], vcc
	s_and_b64 s[2:3], exec, s[2:3]
	s_or_b64 s[10:11], s[2:3], s[10:11]
	s_andn2_b64 exec, exec, s[10:11]
	s_cbranch_execz .LBB18_34
.LBB18_17:                              ; =>This Loop Header: Depth=1
                                        ;     Child Loop BB18_18 Depth 2
                                        ;     Child Loop BB18_24 Depth 2
                                        ;       Child Loop BB18_27 Depth 3
	v_ashrrev_i32_e32 v1, 31, v0
	v_lshlrev_b64 v[10:11], 2, v[0:1]
	v_add_co_u32_e32 v10, vcc, s18, v10
	v_addc_co_u32_e32 v11, vcc, v25, v11, vcc
	global_load_dword v14, v[10:11], off
	v_lshlrev_b64 v[10:11], 3, v[0:1]
	v_add_co_u32_e32 v10, vcc, s20, v10
	v_addc_co_u32_e32 v11, vcc, v26, v11, vcc
	global_load_dwordx2 v[12:13], v[10:11], off
	s_mov_b64 s[2:3], 0
	s_waitcnt vmcnt(1)
	v_subrev_u32_e32 v14, s33, v14
	v_ashrrev_i32_e32 v15, 31, v14
	v_lshlrev_b64 v[14:15], 2, v[14:15]
	v_add_co_u32_e32 v18, vcc, s16, v14
	v_addc_co_u32_e32 v19, vcc, v27, v15, vcc
	v_add_co_u32_e32 v20, vcc, s22, v14
	v_addc_co_u32_e32 v21, vcc, v28, v15, vcc
	global_load_dword v1, v[18:19], off
	global_load_dword v16, v[20:21], off
	v_add_co_u32_e32 v14, vcc, s8, v14
	v_addc_co_u32_e32 v15, vcc, v29, v15, vcc
.LBB18_18:                              ;   Parent Loop BB18_17 Depth=1
                                        ; =>  This Inner Loop Header: Depth=2
	global_load_dword v17, v[14:15], off glc
	s_waitcnt vmcnt(0)
	v_cmp_ne_u32_e32 vcc, 0, v17
	s_or_b64 s[2:3], vcc, s[2:3]
	s_andn2_b64 exec, exec, s[2:3]
	s_cbranch_execnz .LBB18_18
; %bb.19:                               ;   in Loop: Header=BB18_17 Depth=1
	s_or_b64 exec, exec, s[2:3]
	v_cmp_eq_u32_e32 vcc, -1, v16
	v_cndmask_b32_e32 v16, v16, v23, vcc
	v_ashrrev_i32_e32 v17, 31, v16
	v_lshlrev_b64 v[14:15], 3, v[16:17]
	v_add_co_u32_e32 v14, vcc, s20, v14
	v_addc_co_u32_e32 v15, vcc, v26, v15, vcc
	buffer_wbinvl1_vol
	global_load_dwordx2 v[14:15], v[14:15], off
	s_waitcnt vmcnt(0)
	v_cmp_neq_f64_e64 s[2:3], 0, v[14:15]
	s_and_saveexec_b64 s[24:25], s[2:3]
	s_cbranch_execz .LBB18_16
; %bb.20:                               ;   in Loop: Header=BB18_17 Depth=1
	v_add_u32_e32 v20, v24, v1
	v_cmp_lt_i32_e32 vcc, v20, v16
	v_pk_mov_b32 v[18:19], 0, 0
	s_and_saveexec_b64 s[26:27], vcc
	s_cbranch_execz .LBB18_32
; %bb.21:                               ;   in Loop: Header=BB18_17 Depth=1
	s_mov_b64 s[28:29], 0
	v_pk_mov_b32 v[18:19], 0, 0
	s_branch .LBB18_24
.LBB18_22:                              ;   in Loop: Header=BB18_24 Depth=2
	s_or_b64 exec, exec, s[34:35]
.LBB18_23:                              ;   in Loop: Header=BB18_24 Depth=2
	s_or_b64 exec, exec, s[30:31]
	v_add_u32_e32 v20, 32, v20
	v_cmp_ge_i32_e32 vcc, v20, v16
	s_or_b64 s[28:29], vcc, s[28:29]
	s_andn2_b64 exec, exec, s[28:29]
	s_cbranch_execz .LBB18_31
.LBB18_24:                              ;   Parent Loop BB18_17 Depth=1
                                        ; =>  This Loop Header: Depth=2
                                        ;       Child Loop BB18_27 Depth 3
	v_ashrrev_i32_e32 v21, 31, v20
	v_lshlrev_b64 v[30:31], 2, v[20:21]
	v_add_co_u32_e32 v30, vcc, s18, v30
	v_addc_co_u32_e32 v31, vcc, v25, v31, vcc
	global_load_dword v1, v[30:31], off
	s_waitcnt vmcnt(0)
	v_mul_lo_u32 v17, v1, s17
	v_and_b32_e32 v31, 0x1ff, v17
	v_lshl_add_u32 v17, v31, 2, v22
	ds_read_b32 v30, v17
	s_waitcnt lgkmcnt(0)
	v_cmp_ne_u32_e32 vcc, -1, v30
	s_and_saveexec_b64 s[30:31], vcc
	s_cbranch_execz .LBB18_23
; %bb.25:                               ;   in Loop: Header=BB18_24 Depth=2
	s_mov_b64 s[34:35], 0
                                        ; implicit-def: $sgpr36_sgpr37
                                        ; implicit-def: $sgpr40_sgpr41
                                        ; implicit-def: $sgpr38_sgpr39
	s_branch .LBB18_27
.LBB18_26:                              ;   in Loop: Header=BB18_27 Depth=3
	s_or_b64 exec, exec, s[42:43]
	s_and_b64 s[42:43], exec, s[40:41]
	s_or_b64 s[34:35], s[42:43], s[34:35]
	s_andn2_b64 s[36:37], s[36:37], exec
	s_and_b64 s[42:43], s[38:39], exec
	s_or_b64 s[36:37], s[36:37], s[42:43]
	s_andn2_b64 exec, exec, s[34:35]
	s_cbranch_execz .LBB18_29
.LBB18_27:                              ;   Parent Loop BB18_17 Depth=1
                                        ;     Parent Loop BB18_24 Depth=2
                                        ; =>    This Inner Loop Header: Depth=3
	v_mov_b32_e32 v17, v31
	v_cmp_ne_u32_e32 vcc, v30, v1
	s_or_b64 s[38:39], s[38:39], exec
	s_or_b64 s[40:41], s[40:41], exec
                                        ; implicit-def: $vgpr31
                                        ; implicit-def: $vgpr30
	s_and_saveexec_b64 s[42:43], vcc
	s_cbranch_execz .LBB18_26
; %bb.28:                               ;   in Loop: Header=BB18_27 Depth=3
	v_add_u32_e32 v30, 1, v17
	v_and_b32_e32 v31, 0x1ff, v30
	v_lshl_add_u32 v30, v31, 2, v22
	ds_read_b32 v30, v30
	s_andn2_b64 s[40:41], s[40:41], exec
	s_andn2_b64 s[38:39], s[38:39], exec
	s_waitcnt lgkmcnt(0)
	v_cmp_eq_u32_e32 vcc, -1, v30
	s_and_b64 s[44:45], vcc, exec
	s_or_b64 s[40:41], s[40:41], s[44:45]
	s_branch .LBB18_26
.LBB18_29:                              ;   in Loop: Header=BB18_24 Depth=2
	s_or_b64 exec, exec, s[34:35]
	s_and_saveexec_b64 s[34:35], s[36:37]
	s_xor_b64 s[34:35], exec, s[34:35]
	s_cbranch_execz .LBB18_22
; %bb.30:                               ;   in Loop: Header=BB18_24 Depth=2
	v_lshl_add_u32 v1, v17, 2, v5
	ds_read_b32 v30, v1
	v_lshlrev_b64 v[32:33], 3, v[20:21]
	v_add_co_u32_e32 v32, vcc, s20, v32
	v_addc_co_u32_e32 v33, vcc, v26, v33, vcc
	s_waitcnt lgkmcnt(0)
	v_ashrrev_i32_e32 v31, 31, v30
	v_lshlrev_b64 v[30:31], 3, v[30:31]
	v_add_co_u32_e32 v30, vcc, s20, v30
	v_addc_co_u32_e32 v31, vcc, v26, v31, vcc
	global_load_dwordx2 v[34:35], v[32:33], off
	global_load_dwordx2 v[36:37], v[30:31], off
	s_waitcnt vmcnt(0)
	v_fmac_f64_e32 v[18:19], v[34:35], v[36:37]
	s_branch .LBB18_22
.LBB18_31:                              ;   in Loop: Header=BB18_17 Depth=1
	s_or_b64 exec, exec, s[28:29]
.LBB18_32:                              ;   in Loop: Header=BB18_17 Depth=1
	s_or_b64 exec, exec, s[26:27]
	v_mov_b32_dpp v16, v18 row_shr:1 row_mask:0xf bank_mask:0xf
	v_mov_b32_dpp v17, v19 row_shr:1 row_mask:0xf bank_mask:0xf
	v_add_f64 v[16:17], v[18:19], v[16:17]
	s_nop 1
	v_mov_b32_dpp v18, v16 row_shr:2 row_mask:0xf bank_mask:0xf
	v_mov_b32_dpp v19, v17 row_shr:2 row_mask:0xf bank_mask:0xf
	v_add_f64 v[16:17], v[16:17], v[18:19]
	s_nop 1
	;; [unrolled: 4-line block ×4, first 2 shown]
	v_mov_b32_dpp v18, v16 row_bcast:15 row_mask:0xa bank_mask:0xf
	v_mov_b32_dpp v19, v17 row_bcast:15 row_mask:0xa bank_mask:0xf
	s_and_saveexec_b64 s[26:27], s[0:1]
	s_cbranch_execz .LBB18_15
; %bb.33:                               ;   in Loop: Header=BB18_17 Depth=1
	v_div_scale_f64 v[20:21], s[28:29], v[14:15], v[14:15], 1.0
	v_rcp_f64_e32 v[30:31], v[20:21]
	v_div_scale_f64 v[32:33], vcc, 1.0, v[14:15], 1.0
	v_add_f64 v[16:17], v[16:17], v[18:19]
	v_fma_f64 v[34:35], -v[20:21], v[30:31], 1.0
	v_fmac_f64_e32 v[30:31], v[30:31], v[34:35]
	v_fma_f64 v[34:35], -v[20:21], v[30:31], 1.0
	v_fmac_f64_e32 v[30:31], v[30:31], v[34:35]
	v_mul_f64 v[34:35], v[32:33], v[30:31]
	v_fma_f64 v[20:21], -v[20:21], v[34:35], v[32:33]
	v_div_fmas_f64 v[20:21], v[20:21], v[30:31], v[34:35]
	v_div_fixup_f64 v[14:15], v[20:21], v[14:15], 1.0
	v_add_f64 v[12:13], v[12:13], -v[16:17]
	v_mul_f64 v[12:13], v[14:15], v[12:13]
	v_fmac_f64_e32 v[8:9], v[12:13], v[12:13]
	global_store_dwordx2 v[10:11], v[12:13], off
	s_branch .LBB18_15
.LBB18_34:
	s_or_b64 exec, exec, s[10:11]
.LBB18_35:
	s_or_b64 exec, exec, s[6:7]
	v_cmp_eq_u32_e32 vcc, 31, v7
	v_cmp_lt_i32_e64 s[0:1], -1, v6
	s_and_b64 s[0:1], vcc, s[0:1]
	s_and_saveexec_b64 s[2:3], s[0:1]
	s_cbranch_execz .LBB18_46
; %bb.36:
	v_mov_b32_e32 v7, 0
	v_lshlrev_b64 v[0:1], 3, v[6:7]
	v_mov_b32_e32 v5, s21
	v_add_co_u32_e64 v0, s[0:1], s20, v0
	v_addc_co_u32_e64 v1, s[0:1], v5, v1, s[0:1]
	global_load_dwordx2 v[6:7], v[0:1], off
	s_load_dwordx2 s[0:1], s[4:5], 0x48
	v_add_u32_e32 v4, s33, v4
	s_waitcnt lgkmcnt(0)
	v_mul_f64 v[10:11], s[0:1], s[0:1]
	s_waitcnt vmcnt(0)
	v_add_f64 v[6:7], v[6:7], -v[8:9]
	v_cmp_le_f64_e64 s[0:1], v[6:7], v[10:11]
	s_and_saveexec_b64 s[4:5], s[0:1]
	s_cbranch_execz .LBB18_41
; %bb.37:
	s_mov_b64 s[0:1], exec
	s_brev_b32 s6, -2
.LBB18_38:                              ; =>This Inner Loop Header: Depth=1
	s_ff1_i32_b64 s7, s[0:1]
	v_readlane_b32 s16, v4, s7
	s_lshl_b64 s[10:11], 1, s7
	s_min_i32 s6, s6, s16
	s_andn2_b64 s[0:1], s[0:1], s[10:11]
	s_cmp_lg_u64 s[0:1], 0
	s_cbranch_scc1 .LBB18_38
; %bb.39:
	v_mbcnt_lo_u32_b32 v5, exec_lo, 0
	v_mbcnt_hi_u32_b32 v5, exec_hi, v5
	v_cmp_eq_u32_e64 s[0:1], 0, v5
	s_and_saveexec_b64 s[10:11], s[0:1]
	s_xor_b64 s[10:11], exec, s[10:11]
	s_cbranch_execz .LBB18_41
; %bb.40:
	v_mov_b32_e32 v5, 0
	v_mov_b32_e32 v8, s6
	global_atomic_smin v5, v8, s[14:15]
.LBB18_41:
	s_or_b64 exec, exec, s[4:5]
	v_xor_b32_e32 v5, 0x80000000, v7
	v_cmp_gt_f64_e64 s[0:1], 0, v[6:7]
	v_cndmask_b32_e64 v7, v7, v5, s[0:1]
	v_cndmask_b32_e64 v6, v6, v6, s[0:1]
	s_mov_b32 s0, 0
	s_brev_b32 s1, 8
	v_cmp_gt_f64_e64 s[0:1], s[0:1], v[6:7]
	v_cndmask_b32_e64 v5, 0, 1, s[0:1]
	v_lshlrev_b32_e32 v5, 8, v5
	v_ldexp_f64 v[6:7], v[6:7], v5
	v_rsq_f64_e32 v[8:9], v[6:7]
	v_mov_b32_e32 v5, 0xffffff80
	v_cndmask_b32_e64 v5, 0, v5, s[0:1]
	v_mul_f64 v[10:11], v[6:7], v[8:9]
	v_mul_f64 v[8:9], v[8:9], 0.5
	v_fma_f64 v[12:13], -v[8:9], v[10:11], 0.5
	v_fmac_f64_e32 v[10:11], v[10:11], v[12:13]
	v_fma_f64 v[14:15], -v[10:11], v[10:11], v[6:7]
	v_fmac_f64_e32 v[8:9], v[8:9], v[12:13]
	v_fmac_f64_e32 v[10:11], v[14:15], v[8:9]
	v_fma_f64 v[12:13], -v[10:11], v[10:11], v[6:7]
	v_fmac_f64_e32 v[10:11], v[12:13], v[8:9]
	v_ldexp_f64 v[8:9], v[10:11], v5
	v_mov_b32_e32 v5, 0x260
	v_cmp_class_f64_e64 s[0:1], v[6:7], v5
	v_cndmask_b32_e64 v7, v9, v7, s[0:1]
	v_cndmask_b32_e64 v6, v8, v6, s[0:1]
	v_cmp_eq_f64_e64 s[0:1], 0, v[6:7]
	global_store_dwordx2 v[0:1], v[6:7], off
	s_and_b64 exec, exec, s[0:1]
	s_cbranch_execz .LBB18_46
; %bb.42:
	s_mov_b64 s[0:1], exec
	s_brev_b32 s4, -2
.LBB18_43:                              ; =>This Inner Loop Header: Depth=1
	s_ff1_i32_b64 s5, s[0:1]
	v_readlane_b32 s10, v4, s5
	s_lshl_b64 s[6:7], 1, s5
	s_min_i32 s4, s4, s10
	s_andn2_b64 s[0:1], s[0:1], s[6:7]
	s_cmp_lg_u64 s[0:1], 0
	s_cbranch_scc1 .LBB18_43
; %bb.44:
	v_mbcnt_lo_u32_b32 v0, exec_lo, 0
	v_mbcnt_hi_u32_b32 v0, exec_hi, v0
	v_cmp_eq_u32_e64 s[0:1], 0, v0
	s_and_saveexec_b64 s[6:7], s[0:1]
	s_xor_b64 s[6:7], exec, s[6:7]
	s_cbranch_execz .LBB18_46
; %bb.45:
	v_mov_b32_e32 v0, 0
	v_mov_b32_e32 v1, s4
	global_atomic_smin v0, v1, s[12:13]
.LBB18_46:
	s_or_b64 exec, exec, s[2:3]
	s_and_b64 exec, exec, vcc
	s_cbranch_execz .LBB18_48
; %bb.47:
	v_mov_b32_e32 v1, s9
	v_add_co_u32_e32 v0, vcc, s8, v2
	v_addc_co_u32_e32 v1, vcc, v1, v3, vcc
	v_mov_b32_e32 v2, 1
	s_waitcnt vmcnt(0)
	global_store_dword v[0:1], v2, off
.LBB18_48:
	s_endpgm
	.section	.rodata,"a",@progbits
	.p2align	6, 0x0
	.amdhsa_kernel _ZN9rocsparseL18csric0_hash_kernelILj256ELj32ELj16EdEEviPKiS2_PT2_S2_PiS2_S5_S5_d21rocsparse_index_base_
		.amdhsa_group_segment_fixed_size 32768
		.amdhsa_private_segment_fixed_size 0
		.amdhsa_kernarg_size 84
		.amdhsa_user_sgpr_count 6
		.amdhsa_user_sgpr_private_segment_buffer 1
		.amdhsa_user_sgpr_dispatch_ptr 0
		.amdhsa_user_sgpr_queue_ptr 0
		.amdhsa_user_sgpr_kernarg_segment_ptr 1
		.amdhsa_user_sgpr_dispatch_id 0
		.amdhsa_user_sgpr_flat_scratch_init 0
		.amdhsa_user_sgpr_kernarg_preload_length 0
		.amdhsa_user_sgpr_kernarg_preload_offset 0
		.amdhsa_user_sgpr_private_segment_size 0
		.amdhsa_uses_dynamic_stack 0
		.amdhsa_system_sgpr_private_segment_wavefront_offset 0
		.amdhsa_system_sgpr_workgroup_id_x 1
		.amdhsa_system_sgpr_workgroup_id_y 0
		.amdhsa_system_sgpr_workgroup_id_z 0
		.amdhsa_system_sgpr_workgroup_info 0
		.amdhsa_system_vgpr_workitem_id 0
		.amdhsa_next_free_vgpr 38
		.amdhsa_next_free_sgpr 46
		.amdhsa_accum_offset 40
		.amdhsa_reserve_vcc 1
		.amdhsa_reserve_flat_scratch 0
		.amdhsa_float_round_mode_32 0
		.amdhsa_float_round_mode_16_64 0
		.amdhsa_float_denorm_mode_32 3
		.amdhsa_float_denorm_mode_16_64 3
		.amdhsa_dx10_clamp 1
		.amdhsa_ieee_mode 1
		.amdhsa_fp16_overflow 0
		.amdhsa_tg_split 0
		.amdhsa_exception_fp_ieee_invalid_op 0
		.amdhsa_exception_fp_denorm_src 0
		.amdhsa_exception_fp_ieee_div_zero 0
		.amdhsa_exception_fp_ieee_overflow 0
		.amdhsa_exception_fp_ieee_underflow 0
		.amdhsa_exception_fp_ieee_inexact 0
		.amdhsa_exception_int_div_zero 0
	.end_amdhsa_kernel
	.section	.text._ZN9rocsparseL18csric0_hash_kernelILj256ELj32ELj16EdEEviPKiS2_PT2_S2_PiS2_S5_S5_d21rocsparse_index_base_,"axG",@progbits,_ZN9rocsparseL18csric0_hash_kernelILj256ELj32ELj16EdEEviPKiS2_PT2_S2_PiS2_S5_S5_d21rocsparse_index_base_,comdat
.Lfunc_end18:
	.size	_ZN9rocsparseL18csric0_hash_kernelILj256ELj32ELj16EdEEviPKiS2_PT2_S2_PiS2_S5_S5_d21rocsparse_index_base_, .Lfunc_end18-_ZN9rocsparseL18csric0_hash_kernelILj256ELj32ELj16EdEEviPKiS2_PT2_S2_PiS2_S5_S5_d21rocsparse_index_base_
                                        ; -- End function
	.section	.AMDGPU.csdata,"",@progbits
; Kernel info:
; codeLenInByte = 2092
; NumSgprs: 50
; NumVgprs: 38
; NumAgprs: 0
; TotalNumVgprs: 38
; ScratchSize: 0
; MemoryBound: 0
; FloatMode: 240
; IeeeMode: 1
; LDSByteSize: 32768 bytes/workgroup (compile time only)
; SGPRBlocks: 6
; VGPRBlocks: 4
; NumSGPRsForWavesPerEU: 50
; NumVGPRsForWavesPerEU: 38
; AccumOffset: 40
; Occupancy: 2
; WaveLimiterHint : 1
; COMPUTE_PGM_RSRC2:SCRATCH_EN: 0
; COMPUTE_PGM_RSRC2:USER_SGPR: 6
; COMPUTE_PGM_RSRC2:TRAP_HANDLER: 0
; COMPUTE_PGM_RSRC2:TGID_X_EN: 1
; COMPUTE_PGM_RSRC2:TGID_Y_EN: 0
; COMPUTE_PGM_RSRC2:TGID_Z_EN: 0
; COMPUTE_PGM_RSRC2:TIDIG_COMP_CNT: 0
; COMPUTE_PGM_RSRC3_GFX90A:ACCUM_OFFSET: 9
; COMPUTE_PGM_RSRC3_GFX90A:TG_SPLIT: 0
	.section	.text._ZN9rocsparseL23csric0_binsearch_kernelILj256ELj32ELb0EdEEviPKiS2_PT2_S2_PiS2_S5_S5_d21rocsparse_index_base_,"axG",@progbits,_ZN9rocsparseL23csric0_binsearch_kernelILj256ELj32ELb0EdEEviPKiS2_PT2_S2_PiS2_S5_S5_d21rocsparse_index_base_,comdat
	.globl	_ZN9rocsparseL23csric0_binsearch_kernelILj256ELj32ELb0EdEEviPKiS2_PT2_S2_PiS2_S5_S5_d21rocsparse_index_base_ ; -- Begin function _ZN9rocsparseL23csric0_binsearch_kernelILj256ELj32ELb0EdEEviPKiS2_PT2_S2_PiS2_S5_S5_d21rocsparse_index_base_
	.p2align	8
	.type	_ZN9rocsparseL23csric0_binsearch_kernelILj256ELj32ELb0EdEEviPKiS2_PT2_S2_PiS2_S5_S5_d21rocsparse_index_base_,@function
_ZN9rocsparseL23csric0_binsearch_kernelILj256ELj32ELb0EdEEviPKiS2_PT2_S2_PiS2_S5_S5_d21rocsparse_index_base_: ; @_ZN9rocsparseL23csric0_binsearch_kernelILj256ELj32ELb0EdEEviPKiS2_PT2_S2_PiS2_S5_S5_d21rocsparse_index_base_
; %bb.0:
	s_load_dword s0, s[4:5], 0x0
	s_lshl_b32 s1, s6, 3
	v_lshrrev_b32_e32 v1, 5, v0
	s_and_b32 s1, s1, 0x7fffff8
	v_or_b32_e32 v1, s1, v1
	s_waitcnt lgkmcnt(0)
	v_cmp_gt_i32_e32 vcc, s0, v1
	s_and_saveexec_b64 s[0:1], vcc
	s_cbranch_execz .LBB19_47
; %bb.1:
	s_load_dwordx8 s[8:15], s[4:5], 0x18
	v_lshlrev_b32_e32 v1, 2, v1
	s_waitcnt lgkmcnt(0)
	global_load_dword v4, v1, s[14:15]
	s_load_dwordx2 s[14:15], s[4:5], 0x8
	v_mov_b32_e32 v1, s11
	s_waitcnt lgkmcnt(0)
	v_mov_b32_e32 v6, s15
	s_waitcnt vmcnt(0)
	v_ashrrev_i32_e32 v5, 31, v4
	v_lshlrev_b64 v[2:3], 2, v[4:5]
	v_add_co_u32_e32 v10, vcc, s10, v2
	v_addc_co_u32_e32 v11, vcc, v1, v3, vcc
	v_add_co_u32_e32 v8, vcc, s14, v2
	v_addc_co_u32_e32 v9, vcc, v6, v3, vcc
	global_load_dword v1, v[8:9], off
	global_load_dword v6, v[10:11], off
	s_load_dword s33, s[4:5], 0x50
	s_load_dwordx4 s[16:19], s[4:5], 0x38
	s_load_dwordx2 s[6:7], s[4:5], 0x48
	v_and_b32_e32 v5, 31, v0
	s_waitcnt vmcnt(1) lgkmcnt(0)
	v_subrev_u32_e32 v7, s33, v1
	s_waitcnt vmcnt(0)
	v_cmp_lt_i32_e32 vcc, v7, v6
	v_pk_mov_b32 v[0:1], 0, 0
	s_and_saveexec_b64 s[20:21], vcc
	s_cbranch_execz .LBB19_34
; %bb.2:
	global_load_dword v8, v[8:9], off offset:4
	s_load_dwordx2 s[22:23], s[4:5], 0x10
	v_add_u32_e32 v24, -1, v6
	v_cmp_eq_u32_e64 s[0:1], 0, v5
	v_subrev_u32_e32 v25, s33, v5
	v_cmp_eq_u32_e64 s[2:3], 31, v5
	s_mov_b64 s[24:25], 0
	v_pk_mov_b32 v[0:1], 0, 0
	v_mov_b32_e32 v26, s9
	v_mov_b32_e32 v27, s15
	;; [unrolled: 1-line block ×5, first 2 shown]
	s_waitcnt lgkmcnt(0)
	v_mov_b32_e32 v31, s23
	s_waitcnt vmcnt(0)
	v_xad_u32 v32, s33, -1, v8
	v_mov_b32_e32 v8, v7
	s_branch .LBB19_5
.LBB19_3:                               ;   in Loop: Header=BB19_5 Depth=1
	s_or_b64 exec, exec, s[28:29]
.LBB19_4:                               ;   in Loop: Header=BB19_5 Depth=1
	s_or_b64 exec, exec, s[26:27]
	v_add_u32_e32 v8, 1, v8
	v_cmp_ge_i32_e32 vcc, v8, v6
	s_xor_b64 s[4:5], s[4:5], -1
	s_or_b64 s[4:5], s[4:5], vcc
	s_and_b64 s[4:5], exec, s[4:5]
	s_or_b64 s[24:25], s[4:5], s[24:25]
	s_andn2_b64 exec, exec, s[24:25]
	s_cbranch_execz .LBB19_33
.LBB19_5:                               ; =>This Loop Header: Depth=1
                                        ;     Child Loop BB19_7 Depth 2
                                        ;     Child Loop BB19_11 Depth 2
	;; [unrolled: 1-line block ×4, first 2 shown]
                                        ;       Child Loop BB19_26 Depth 3
	v_ashrrev_i32_e32 v9, 31, v8
	v_lshlrev_b64 v[10:11], 2, v[8:9]
	v_add_co_u32_e32 v10, vcc, s22, v10
	v_addc_co_u32_e32 v11, vcc, v31, v11, vcc
	global_load_dword v18, v[10:11], off
	v_lshlrev_b64 v[10:11], 3, v[8:9]
	v_add_co_u32_e32 v10, vcc, s8, v10
	v_addc_co_u32_e32 v11, vcc, v26, v11, vcc
	global_load_dwordx2 v[12:13], v[10:11], off
	s_waitcnt vmcnt(1)
	v_subrev_u32_e32 v14, s33, v18
	v_ashrrev_i32_e32 v15, 31, v14
	v_lshlrev_b64 v[14:15], 2, v[14:15]
	v_add_co_u32_e32 v20, vcc, s14, v14
	v_addc_co_u32_e32 v21, vcc, v27, v15, vcc
	v_add_co_u32_e32 v22, vcc, s10, v14
	v_addc_co_u32_e32 v23, vcc, v28, v15, vcc
	;; [unrolled: 2-line block ×3, first 2 shown]
	global_load_dword v9, v[20:21], off
	global_load_dword v16, v[22:23], off
	global_load_dword v17, v[14:15], off glc
	s_waitcnt vmcnt(0)
	v_cmp_eq_u32_e32 vcc, 0, v17
	s_and_saveexec_b64 s[4:5], vcc
	s_cbranch_execz .LBB19_8
; %bb.6:                                ;   in Loop: Header=BB19_5 Depth=1
	s_mov_b64 s[26:27], 0
.LBB19_7:                               ;   Parent Loop BB19_5 Depth=1
                                        ; =>  This Inner Loop Header: Depth=2
	global_load_dword v17, v[14:15], off glc
	s_waitcnt vmcnt(0)
	v_cmp_ne_u32_e32 vcc, 0, v17
	s_or_b64 s[26:27], vcc, s[26:27]
	s_andn2_b64 exec, exec, s[26:27]
	s_cbranch_execnz .LBB19_7
.LBB19_8:                               ;   in Loop: Header=BB19_5 Depth=1
	s_or_b64 exec, exec, s[4:5]
	v_cmp_eq_u32_e32 vcc, -1, v16
	v_cndmask_b32_e32 v16, v16, v24, vcc
	v_ashrrev_i32_e32 v17, 31, v16
	v_lshlrev_b64 v[14:15], 3, v[16:17]
	v_add_co_u32_e32 v14, vcc, s8, v14
	v_addc_co_u32_e32 v15, vcc, v26, v15, vcc
	buffer_wbinvl1_vol
	global_load_dwordx2 v[14:15], v[14:15], off
	s_waitcnt vmcnt(0)
	v_cmp_neq_f64_e64 s[4:5], 0, v[14:15]
	v_cmp_eq_f64_e32 vcc, 0, v[14:15]
	s_and_saveexec_b64 s[26:27], vcc
	s_xor_b64 s[26:27], exec, s[26:27]
	s_cbranch_execz .LBB19_15
; %bb.9:                                ;   in Loop: Header=BB19_5 Depth=1
	s_and_saveexec_b64 s[28:29], s[0:1]
	s_cbranch_execz .LBB19_14
; %bb.10:                               ;   in Loop: Header=BB19_5 Depth=1
	s_mov_b64 s[30:31], exec
	s_brev_b32 s11, -2
.LBB19_11:                              ;   Parent Loop BB19_5 Depth=1
                                        ; =>  This Inner Loop Header: Depth=2
	s_ff1_i32_b64 s15, s[30:31]
	v_readlane_b32 s36, v18, s15
	s_lshl_b64 s[34:35], 1, s15
	s_min_i32 s11, s11, s36
	s_andn2_b64 s[30:31], s[30:31], s[34:35]
	s_cmp_lg_u64 s[30:31], 0
	s_cbranch_scc1 .LBB19_11
; %bb.12:                               ;   in Loop: Header=BB19_5 Depth=1
	v_mbcnt_lo_u32_b32 v9, exec_lo, 0
	v_mbcnt_hi_u32_b32 v9, exec_hi, v9
	v_cmp_eq_u32_e32 vcc, 0, v9
	s_and_saveexec_b64 s[30:31], vcc
	s_xor_b64 s[30:31], exec, s[30:31]
	s_cbranch_execz .LBB19_14
; %bb.13:                               ;   in Loop: Header=BB19_5 Depth=1
	v_mov_b32_e32 v9, s11
	global_atomic_smin v30, v9, s[16:17]
.LBB19_14:                              ;   in Loop: Header=BB19_5 Depth=1
	s_or_b64 exec, exec, s[28:29]
                                        ; implicit-def: $vgpr14_vgpr15
                                        ; implicit-def: $vgpr12_vgpr13
                                        ; implicit-def: $vgpr10_vgpr11
                                        ; implicit-def: $vgpr9
                                        ; implicit-def: $vgpr16
                                        ; implicit-def: $vgpr18
.LBB19_15:                              ;   in Loop: Header=BB19_5 Depth=1
	s_andn2_saveexec_b64 s[26:27], s[26:27]
	s_cbranch_execz .LBB19_4
; %bb.16:                               ;   in Loop: Header=BB19_5 Depth=1
	v_cmp_ge_f64_e32 vcc, s[6:7], v[14:15]
	s_and_b64 s[30:31], s[0:1], vcc
	s_and_saveexec_b64 s[28:29], s[30:31]
	s_cbranch_execz .LBB19_21
; %bb.17:                               ;   in Loop: Header=BB19_5 Depth=1
	s_mov_b64 s[30:31], exec
	s_brev_b32 s11, -2
.LBB19_18:                              ;   Parent Loop BB19_5 Depth=1
                                        ; =>  This Inner Loop Header: Depth=2
	s_ff1_i32_b64 s15, s[30:31]
	v_readlane_b32 s36, v18, s15
	s_lshl_b64 s[34:35], 1, s15
	s_min_i32 s11, s11, s36
	s_andn2_b64 s[30:31], s[30:31], s[34:35]
	s_cmp_lg_u64 s[30:31], 0
	s_cbranch_scc1 .LBB19_18
; %bb.19:                               ;   in Loop: Header=BB19_5 Depth=1
	v_mbcnt_lo_u32_b32 v17, exec_lo, 0
	v_mbcnt_hi_u32_b32 v17, exec_hi, v17
	v_cmp_eq_u32_e32 vcc, 0, v17
	s_and_saveexec_b64 s[30:31], vcc
	s_xor_b64 s[30:31], exec, s[30:31]
	s_cbranch_execz .LBB19_21
; %bb.20:                               ;   in Loop: Header=BB19_5 Depth=1
	v_mov_b32_e32 v17, s11
	global_atomic_smin v30, v17, s[18:19]
.LBB19_21:                              ;   in Loop: Header=BB19_5 Depth=1
	s_or_b64 exec, exec, s[28:29]
	v_add_u32_e32 v20, v25, v9
	v_cmp_lt_i32_e32 vcc, v20, v16
	v_pk_mov_b32 v[18:19], 0, 0
	s_and_saveexec_b64 s[28:29], vcc
	s_cbranch_execz .LBB19_31
; %bb.22:                               ;   in Loop: Header=BB19_5 Depth=1
	s_mov_b64 s[30:31], 0
	v_pk_mov_b32 v[18:19], 0, 0
	v_mov_b32_e32 v9, v7
	s_branch .LBB19_24
.LBB19_23:                              ;   in Loop: Header=BB19_24 Depth=2
	s_or_b64 exec, exec, s[34:35]
	v_add_u32_e32 v20, 32, v20
	v_cmp_ge_i32_e32 vcc, v20, v16
	s_or_b64 s[30:31], vcc, s[30:31]
	s_andn2_b64 exec, exec, s[30:31]
	s_cbranch_execz .LBB19_30
.LBB19_24:                              ;   Parent Loop BB19_5 Depth=1
                                        ; =>  This Loop Header: Depth=2
                                        ;       Child Loop BB19_26 Depth 3
	v_ashrrev_i32_e32 v21, 31, v20
	v_add_u32_e32 v17, v9, v32
	v_lshlrev_b64 v[22:23], 2, v[20:21]
	v_mov_b32_e32 v33, s23
	v_add_co_u32_e32 v34, vcc, s22, v22
	v_ashrrev_i32_e32 v22, 1, v17
	v_addc_co_u32_e32 v35, vcc, v33, v23, vcc
	v_ashrrev_i32_e32 v23, 31, v22
	v_lshlrev_b64 v[36:37], 2, v[22:23]
	v_add_co_u32_e32 v36, vcc, s22, v36
	v_addc_co_u32_e32 v37, vcc, v33, v37, vcc
	global_load_dword v17, v[34:35], off
	global_load_dword v33, v[36:37], off
	v_cmp_lt_i32_e32 vcc, v9, v32
	s_and_saveexec_b64 s[34:35], vcc
	s_cbranch_execz .LBB19_28
; %bb.25:                               ;   in Loop: Header=BB19_24 Depth=2
	s_mov_b64 s[36:37], 0
	v_mov_b32_e32 v34, v32
.LBB19_26:                              ;   Parent Loop BB19_5 Depth=1
                                        ;     Parent Loop BB19_24 Depth=2
                                        ; =>    This Inner Loop Header: Depth=3
	v_add_u32_e32 v23, 1, v22
	s_waitcnt vmcnt(0)
	v_cmp_lt_i32_e32 vcc, v33, v17
	v_cndmask_b32_e32 v9, v9, v23, vcc
	v_cndmask_b32_e32 v34, v22, v34, vcc
	v_add_u32_e32 v22, v34, v9
	v_ashrrev_i32_e32 v22, 1, v22
	v_ashrrev_i32_e32 v23, 31, v22
	v_lshlrev_b64 v[36:37], 2, v[22:23]
	v_mov_b32_e32 v33, s23
	v_add_co_u32_e32 v36, vcc, s22, v36
	v_addc_co_u32_e32 v37, vcc, v33, v37, vcc
	global_load_dword v33, v[36:37], off
	v_cmp_ge_i32_e32 vcc, v9, v34
	s_or_b64 s[36:37], vcc, s[36:37]
	s_andn2_b64 exec, exec, s[36:37]
	s_cbranch_execnz .LBB19_26
; %bb.27:                               ;   in Loop: Header=BB19_24 Depth=2
	s_or_b64 exec, exec, s[36:37]
.LBB19_28:                              ;   in Loop: Header=BB19_24 Depth=2
	s_or_b64 exec, exec, s[34:35]
	s_waitcnt vmcnt(0)
	v_cmp_eq_u32_e32 vcc, v33, v17
	s_and_saveexec_b64 s[34:35], vcc
	s_cbranch_execz .LBB19_23
; %bb.29:                               ;   in Loop: Header=BB19_24 Depth=2
	v_lshlrev_b64 v[22:23], 3, v[22:23]
	v_mov_b32_e32 v17, s9
	v_add_co_u32_e32 v22, vcc, s8, v22
	v_addc_co_u32_e32 v23, vcc, v17, v23, vcc
	v_lshlrev_b64 v[34:35], 3, v[20:21]
	v_add_co_u32_e32 v34, vcc, s8, v34
	v_addc_co_u32_e32 v35, vcc, v17, v35, vcc
	global_load_dwordx2 v[36:37], v[34:35], off
	global_load_dwordx2 v[38:39], v[22:23], off
	s_waitcnt vmcnt(0)
	v_fmac_f64_e32 v[18:19], v[36:37], v[38:39]
	s_branch .LBB19_23
.LBB19_30:                              ;   in Loop: Header=BB19_5 Depth=1
	s_or_b64 exec, exec, s[30:31]
.LBB19_31:                              ;   in Loop: Header=BB19_5 Depth=1
	s_or_b64 exec, exec, s[28:29]
	v_mov_b32_dpp v16, v18 row_shr:1 row_mask:0xf bank_mask:0xf
	v_mov_b32_dpp v17, v19 row_shr:1 row_mask:0xf bank_mask:0xf
	v_add_f64 v[16:17], v[18:19], v[16:17]
	s_nop 1
	v_mov_b32_dpp v18, v16 row_shr:2 row_mask:0xf bank_mask:0xf
	v_mov_b32_dpp v19, v17 row_shr:2 row_mask:0xf bank_mask:0xf
	v_add_f64 v[16:17], v[16:17], v[18:19]
	s_nop 1
	v_mov_b32_dpp v18, v16 row_shr:4 row_mask:0xf bank_mask:0xe
	v_mov_b32_dpp v19, v17 row_shr:4 row_mask:0xf bank_mask:0xe
	v_add_f64 v[16:17], v[16:17], v[18:19]
	s_nop 1
	v_mov_b32_dpp v18, v16 row_shr:8 row_mask:0xf bank_mask:0xc
	v_mov_b32_dpp v19, v17 row_shr:8 row_mask:0xf bank_mask:0xc
	v_add_f64 v[16:17], v[16:17], v[18:19]
	s_nop 1
	v_mov_b32_dpp v18, v16 row_bcast:15 row_mask:0xa bank_mask:0xf
	v_mov_b32_dpp v19, v17 row_bcast:15 row_mask:0xa bank_mask:0xf
	s_and_saveexec_b64 s[28:29], s[2:3]
	s_cbranch_execz .LBB19_3
; %bb.32:                               ;   in Loop: Header=BB19_5 Depth=1
	v_div_scale_f64 v[20:21], s[30:31], v[14:15], v[14:15], 1.0
	v_rcp_f64_e32 v[22:23], v[20:21]
	v_div_scale_f64 v[34:35], vcc, 1.0, v[14:15], 1.0
	v_add_f64 v[16:17], v[16:17], v[18:19]
	v_fma_f64 v[36:37], -v[20:21], v[22:23], 1.0
	v_fmac_f64_e32 v[22:23], v[22:23], v[36:37]
	v_fma_f64 v[36:37], -v[20:21], v[22:23], 1.0
	v_fmac_f64_e32 v[22:23], v[22:23], v[36:37]
	v_mul_f64 v[36:37], v[34:35], v[22:23]
	v_fma_f64 v[20:21], -v[20:21], v[36:37], v[34:35]
	v_div_fmas_f64 v[20:21], v[20:21], v[22:23], v[36:37]
	v_div_fixup_f64 v[14:15], v[20:21], v[14:15], 1.0
	v_add_f64 v[12:13], v[12:13], -v[16:17]
	v_mul_f64 v[12:13], v[14:15], v[12:13]
	v_fmac_f64_e32 v[0:1], v[12:13], v[12:13]
	global_store_dwordx2 v[10:11], v[12:13], off
	s_branch .LBB19_3
.LBB19_33:
	s_or_b64 exec, exec, s[24:25]
.LBB19_34:
	s_or_b64 exec, exec, s[20:21]
	v_cmp_eq_u32_e32 vcc, 31, v5
	v_cmp_lt_i32_e64 s[0:1], -1, v6
	s_and_b64 s[0:1], vcc, s[0:1]
	s_and_saveexec_b64 s[2:3], s[0:1]
	s_cbranch_execz .LBB19_45
; %bb.35:
	v_mov_b32_e32 v7, 0
	v_lshlrev_b64 v[6:7], 3, v[6:7]
	v_mov_b32_e32 v5, s9
	v_add_co_u32_e64 v6, s[0:1], s8, v6
	v_addc_co_u32_e64 v7, s[0:1], v5, v7, s[0:1]
	global_load_dwordx2 v[8:9], v[6:7], off
	v_mul_f64 v[10:11], s[6:7], s[6:7]
	v_add_u32_e32 v4, s33, v4
	s_waitcnt vmcnt(0)
	v_add_f64 v[0:1], v[8:9], -v[0:1]
	v_cmp_le_f64_e64 s[0:1], v[0:1], v[10:11]
	s_and_saveexec_b64 s[4:5], s[0:1]
	s_cbranch_execz .LBB19_40
; %bb.36:
	s_mov_b64 s[0:1], exec
	s_brev_b32 s6, -2
.LBB19_37:                              ; =>This Inner Loop Header: Depth=1
	s_ff1_i32_b64 s7, s[0:1]
	v_readlane_b32 s10, v4, s7
	s_lshl_b64 s[8:9], 1, s7
	s_min_i32 s6, s6, s10
	s_andn2_b64 s[0:1], s[0:1], s[8:9]
	s_cmp_lg_u64 s[0:1], 0
	s_cbranch_scc1 .LBB19_37
; %bb.38:
	v_mbcnt_lo_u32_b32 v5, exec_lo, 0
	v_mbcnt_hi_u32_b32 v5, exec_hi, v5
	v_cmp_eq_u32_e64 s[0:1], 0, v5
	s_and_saveexec_b64 s[8:9], s[0:1]
	s_xor_b64 s[8:9], exec, s[8:9]
	s_cbranch_execz .LBB19_40
; %bb.39:
	v_mov_b32_e32 v5, 0
	v_mov_b32_e32 v8, s6
	global_atomic_smin v5, v8, s[18:19]
.LBB19_40:
	s_or_b64 exec, exec, s[4:5]
	v_xor_b32_e32 v5, 0x80000000, v1
	v_cmp_gt_f64_e64 s[0:1], 0, v[0:1]
	v_cndmask_b32_e64 v1, v1, v5, s[0:1]
	v_cndmask_b32_e64 v0, v0, v0, s[0:1]
	s_mov_b32 s0, 0
	s_brev_b32 s1, 8
	v_cmp_gt_f64_e64 s[0:1], s[0:1], v[0:1]
	v_cndmask_b32_e64 v5, 0, 1, s[0:1]
	v_lshlrev_b32_e32 v5, 8, v5
	v_ldexp_f64 v[0:1], v[0:1], v5
	v_rsq_f64_e32 v[8:9], v[0:1]
	v_mov_b32_e32 v5, 0xffffff80
	v_cndmask_b32_e64 v5, 0, v5, s[0:1]
	v_mul_f64 v[10:11], v[0:1], v[8:9]
	v_mul_f64 v[8:9], v[8:9], 0.5
	v_fma_f64 v[12:13], -v[8:9], v[10:11], 0.5
	v_fmac_f64_e32 v[10:11], v[10:11], v[12:13]
	v_fma_f64 v[14:15], -v[10:11], v[10:11], v[0:1]
	v_fmac_f64_e32 v[8:9], v[8:9], v[12:13]
	v_fmac_f64_e32 v[10:11], v[14:15], v[8:9]
	v_fma_f64 v[12:13], -v[10:11], v[10:11], v[0:1]
	v_fmac_f64_e32 v[10:11], v[12:13], v[8:9]
	v_ldexp_f64 v[8:9], v[10:11], v5
	v_mov_b32_e32 v5, 0x260
	v_cmp_class_f64_e64 s[0:1], v[0:1], v5
	v_cndmask_b32_e64 v1, v9, v1, s[0:1]
	v_cndmask_b32_e64 v0, v8, v0, s[0:1]
	v_cmp_eq_f64_e64 s[0:1], 0, v[0:1]
	global_store_dwordx2 v[6:7], v[0:1], off
	s_and_b64 exec, exec, s[0:1]
	s_cbranch_execz .LBB19_45
; %bb.41:
	s_mov_b64 s[0:1], exec
	s_brev_b32 s4, -2
.LBB19_42:                              ; =>This Inner Loop Header: Depth=1
	s_ff1_i32_b64 s5, s[0:1]
	v_readlane_b32 s8, v4, s5
	s_lshl_b64 s[6:7], 1, s5
	s_min_i32 s4, s4, s8
	s_andn2_b64 s[0:1], s[0:1], s[6:7]
	s_cmp_lg_u64 s[0:1], 0
	s_cbranch_scc1 .LBB19_42
; %bb.43:
	v_mbcnt_lo_u32_b32 v0, exec_lo, 0
	v_mbcnt_hi_u32_b32 v0, exec_hi, v0
	v_cmp_eq_u32_e64 s[0:1], 0, v0
	s_and_saveexec_b64 s[6:7], s[0:1]
	s_xor_b64 s[6:7], exec, s[6:7]
	s_cbranch_execz .LBB19_45
; %bb.44:
	v_mov_b32_e32 v0, 0
	v_mov_b32_e32 v1, s4
	global_atomic_smin v0, v1, s[16:17]
.LBB19_45:
	s_or_b64 exec, exec, s[2:3]
	s_and_b64 exec, exec, vcc
	s_cbranch_execz .LBB19_47
; %bb.46:
	v_mov_b32_e32 v1, s13
	v_add_co_u32_e32 v0, vcc, s12, v2
	v_addc_co_u32_e32 v1, vcc, v1, v3, vcc
	v_mov_b32_e32 v2, 1
	s_waitcnt vmcnt(0)
	global_store_dword v[0:1], v2, off
.LBB19_47:
	s_endpgm
	.section	.rodata,"a",@progbits
	.p2align	6, 0x0
	.amdhsa_kernel _ZN9rocsparseL23csric0_binsearch_kernelILj256ELj32ELb0EdEEviPKiS2_PT2_S2_PiS2_S5_S5_d21rocsparse_index_base_
		.amdhsa_group_segment_fixed_size 0
		.amdhsa_private_segment_fixed_size 0
		.amdhsa_kernarg_size 84
		.amdhsa_user_sgpr_count 6
		.amdhsa_user_sgpr_private_segment_buffer 1
		.amdhsa_user_sgpr_dispatch_ptr 0
		.amdhsa_user_sgpr_queue_ptr 0
		.amdhsa_user_sgpr_kernarg_segment_ptr 1
		.amdhsa_user_sgpr_dispatch_id 0
		.amdhsa_user_sgpr_flat_scratch_init 0
		.amdhsa_user_sgpr_kernarg_preload_length 0
		.amdhsa_user_sgpr_kernarg_preload_offset 0
		.amdhsa_user_sgpr_private_segment_size 0
		.amdhsa_uses_dynamic_stack 0
		.amdhsa_system_sgpr_private_segment_wavefront_offset 0
		.amdhsa_system_sgpr_workgroup_id_x 1
		.amdhsa_system_sgpr_workgroup_id_y 0
		.amdhsa_system_sgpr_workgroup_id_z 0
		.amdhsa_system_sgpr_workgroup_info 0
		.amdhsa_system_vgpr_workitem_id 0
		.amdhsa_next_free_vgpr 40
		.amdhsa_next_free_sgpr 38
		.amdhsa_accum_offset 40
		.amdhsa_reserve_vcc 1
		.amdhsa_reserve_flat_scratch 0
		.amdhsa_float_round_mode_32 0
		.amdhsa_float_round_mode_16_64 0
		.amdhsa_float_denorm_mode_32 3
		.amdhsa_float_denorm_mode_16_64 3
		.amdhsa_dx10_clamp 1
		.amdhsa_ieee_mode 1
		.amdhsa_fp16_overflow 0
		.amdhsa_tg_split 0
		.amdhsa_exception_fp_ieee_invalid_op 0
		.amdhsa_exception_fp_denorm_src 0
		.amdhsa_exception_fp_ieee_div_zero 0
		.amdhsa_exception_fp_ieee_overflow 0
		.amdhsa_exception_fp_ieee_underflow 0
		.amdhsa_exception_fp_ieee_inexact 0
		.amdhsa_exception_int_div_zero 0
	.end_amdhsa_kernel
	.section	.text._ZN9rocsparseL23csric0_binsearch_kernelILj256ELj32ELb0EdEEviPKiS2_PT2_S2_PiS2_S5_S5_d21rocsparse_index_base_,"axG",@progbits,_ZN9rocsparseL23csric0_binsearch_kernelILj256ELj32ELb0EdEEviPKiS2_PT2_S2_PiS2_S5_S5_d21rocsparse_index_base_,comdat
.Lfunc_end19:
	.size	_ZN9rocsparseL23csric0_binsearch_kernelILj256ELj32ELb0EdEEviPKiS2_PT2_S2_PiS2_S5_S5_d21rocsparse_index_base_, .Lfunc_end19-_ZN9rocsparseL23csric0_binsearch_kernelILj256ELj32ELb0EdEEviPKiS2_PT2_S2_PiS2_S5_S5_d21rocsparse_index_base_
                                        ; -- End function
	.section	.AMDGPU.csdata,"",@progbits
; Kernel info:
; codeLenInByte = 1920
; NumSgprs: 42
; NumVgprs: 40
; NumAgprs: 0
; TotalNumVgprs: 40
; ScratchSize: 0
; MemoryBound: 1
; FloatMode: 240
; IeeeMode: 1
; LDSByteSize: 0 bytes/workgroup (compile time only)
; SGPRBlocks: 5
; VGPRBlocks: 4
; NumSGPRsForWavesPerEU: 42
; NumVGPRsForWavesPerEU: 40
; AccumOffset: 40
; Occupancy: 8
; WaveLimiterHint : 1
; COMPUTE_PGM_RSRC2:SCRATCH_EN: 0
; COMPUTE_PGM_RSRC2:USER_SGPR: 6
; COMPUTE_PGM_RSRC2:TRAP_HANDLER: 0
; COMPUTE_PGM_RSRC2:TGID_X_EN: 1
; COMPUTE_PGM_RSRC2:TGID_Y_EN: 0
; COMPUTE_PGM_RSRC2:TGID_Z_EN: 0
; COMPUTE_PGM_RSRC2:TIDIG_COMP_CNT: 0
; COMPUTE_PGM_RSRC3_GFX90A:ACCUM_OFFSET: 9
; COMPUTE_PGM_RSRC3_GFX90A:TG_SPLIT: 0
	.section	.text._ZN9rocsparseL18csric0_hash_kernelILj256ELj64ELj1EdEEviPKiS2_PT2_S2_PiS2_S5_S5_d21rocsparse_index_base_,"axG",@progbits,_ZN9rocsparseL18csric0_hash_kernelILj256ELj64ELj1EdEEviPKiS2_PT2_S2_PiS2_S5_S5_d21rocsparse_index_base_,comdat
	.globl	_ZN9rocsparseL18csric0_hash_kernelILj256ELj64ELj1EdEEviPKiS2_PT2_S2_PiS2_S5_S5_d21rocsparse_index_base_ ; -- Begin function _ZN9rocsparseL18csric0_hash_kernelILj256ELj64ELj1EdEEviPKiS2_PT2_S2_PiS2_S5_S5_d21rocsparse_index_base_
	.p2align	8
	.type	_ZN9rocsparseL18csric0_hash_kernelILj256ELj64ELj1EdEEviPKiS2_PT2_S2_PiS2_S5_S5_d21rocsparse_index_base_,@function
_ZN9rocsparseL18csric0_hash_kernelILj256ELj64ELj1EdEEviPKiS2_PT2_S2_PiS2_S5_S5_d21rocsparse_index_base_: ; @_ZN9rocsparseL18csric0_hash_kernelILj256ELj64ELj1EdEEviPKiS2_PT2_S2_PiS2_S5_S5_d21rocsparse_index_base_
; %bb.0:
	s_load_dword s0, s[4:5], 0x0
	s_lshl_b32 s1, s6, 2
	v_and_b32_e32 v5, 63, v0
	v_and_b32_e32 v6, 0xc0, v0
	v_mov_b32_e32 v1, 0x400
	v_lshrrev_b32_e32 v0, 6, v0
	s_and_b32 s1, s1, 0x3fffffc
	v_lshl_or_b32 v22, v6, 2, v1
	v_or_b32_e32 v0, s1, v0
	v_lshl_or_b32 v1, v5, 2, v22
	v_mov_b32_e32 v2, -1
	s_waitcnt lgkmcnt(0)
	v_cmp_gt_i32_e32 vcc, s0, v0
	ds_write_b32 v1, v2
	s_waitcnt lgkmcnt(0)
	s_and_saveexec_b64 s[0:1], vcc
	s_cbranch_execz .LBB20_46
; %bb.1:
	s_load_dwordx8 s[8:15], s[4:5], 0x28
	v_lshlrev_b32_e32 v0, 2, v0
	s_load_dwordx8 s[16:23], s[4:5], 0x8
	s_load_dword s33, s[4:5], 0x50
	s_waitcnt lgkmcnt(0)
	global_load_dword v2, v0, s[10:11]
	v_mov_b32_e32 v7, s17
	v_mov_b32_e32 v4, s23
	s_waitcnt vmcnt(0)
	v_ashrrev_i32_e32 v3, 31, v2
	v_lshlrev_b64 v[0:1], 2, v[2:3]
	v_add_co_u32_e32 v8, vcc, s16, v0
	v_addc_co_u32_e32 v9, vcc, v7, v1, vcc
	global_load_dwordx2 v[8:9], v[8:9], off
	v_add_co_u32_e32 v10, vcc, s22, v0
	v_addc_co_u32_e32 v11, vcc, v4, v1, vcc
	global_load_dword v4, v[10:11], off
	v_lshlrev_b32_e32 v3, 2, v6
	s_waitcnt vmcnt(1)
	v_subrev_u32_e32 v6, s33, v8
	v_subrev_u32_e32 v7, s33, v9
	v_add_u32_e32 v8, v6, v5
	v_cmp_lt_i32_e32 vcc, v8, v7
	s_and_saveexec_b64 s[0:1], vcc
	s_cbranch_execz .LBB20_11
; %bb.2:
	s_mov_b64 s[2:3], 0
	v_mov_b32_e32 v10, s19
	v_mov_b32_e32 v11, -1
	s_branch .LBB20_4
.LBB20_3:                               ;   in Loop: Header=BB20_4 Depth=1
	s_or_b64 exec, exec, s[6:7]
	v_add_u32_e32 v8, 64, v8
	v_cmp_ge_i32_e32 vcc, v8, v7
	s_or_b64 s[2:3], vcc, s[2:3]
	s_andn2_b64 exec, exec, s[2:3]
	s_cbranch_execz .LBB20_11
.LBB20_4:                               ; =>This Loop Header: Depth=1
                                        ;     Child Loop BB20_7 Depth 2
	v_ashrrev_i32_e32 v9, 31, v8
	v_lshlrev_b64 v[12:13], 2, v[8:9]
	v_add_co_u32_e32 v12, vcc, s18, v12
	v_addc_co_u32_e32 v13, vcc, v10, v13, vcc
	global_load_dword v9, v[12:13], off
	s_waitcnt vmcnt(0)
	v_mul_lo_u32 v12, v9, 39
	v_and_b32_e32 v12, 63, v12
	v_lshl_add_u32 v13, v12, 2, v22
	ds_read_b32 v14, v13
	s_waitcnt lgkmcnt(0)
	v_cmp_ne_u32_e32 vcc, v14, v9
	s_and_saveexec_b64 s[6:7], vcc
	s_cbranch_execz .LBB20_3
; %bb.5:                                ;   in Loop: Header=BB20_4 Depth=1
	s_mov_b64 s[10:11], 0
                                        ; implicit-def: $sgpr24_sgpr25
                                        ; implicit-def: $sgpr28_sgpr29
                                        ; implicit-def: $sgpr26_sgpr27
	s_branch .LBB20_7
.LBB20_6:                               ;   in Loop: Header=BB20_7 Depth=2
	s_or_b64 exec, exec, s[30:31]
	s_and_b64 s[30:31], exec, s[28:29]
	s_or_b64 s[10:11], s[30:31], s[10:11]
	s_andn2_b64 s[24:25], s[24:25], exec
	s_and_b64 s[30:31], s[26:27], exec
	s_or_b64 s[24:25], s[24:25], s[30:31]
	s_andn2_b64 exec, exec, s[10:11]
	s_cbranch_execz .LBB20_9
.LBB20_7:                               ;   Parent Loop BB20_4 Depth=1
                                        ; =>  This Inner Loop Header: Depth=2
	ds_cmpst_rtn_b32 v13, v13, v11, v9
	v_mov_b32_e32 v14, v12
	s_or_b64 s[26:27], s[26:27], exec
	s_or_b64 s[28:29], s[28:29], exec
                                        ; implicit-def: $vgpr12
	s_waitcnt lgkmcnt(0)
	v_cmp_ne_u32_e32 vcc, -1, v13
                                        ; implicit-def: $vgpr13
	s_and_saveexec_b64 s[30:31], vcc
	s_cbranch_execz .LBB20_6
; %bb.8:                                ;   in Loop: Header=BB20_7 Depth=2
	v_add_u32_e32 v12, 1, v14
	v_and_b32_e32 v12, 63, v12
	v_lshl_add_u32 v13, v12, 2, v22
	ds_read_b32 v15, v13
	s_andn2_b64 s[28:29], s[28:29], exec
	s_andn2_b64 s[26:27], s[26:27], exec
	s_waitcnt lgkmcnt(0)
	v_cmp_eq_u32_e32 vcc, v15, v9
	s_and_b64 s[34:35], vcc, exec
	s_or_b64 s[28:29], s[28:29], s[34:35]
	s_branch .LBB20_6
.LBB20_9:                               ;   in Loop: Header=BB20_4 Depth=1
	s_or_b64 exec, exec, s[10:11]
	s_and_saveexec_b64 s[10:11], s[24:25]
	s_xor_b64 s[10:11], exec, s[10:11]
	s_cbranch_execz .LBB20_3
; %bb.10:                               ;   in Loop: Header=BB20_4 Depth=1
	v_lshl_add_u32 v9, v14, 2, v3
	ds_write_b32 v9, v8
	s_branch .LBB20_3
.LBB20_11:
	s_or_b64 exec, exec, s[0:1]
	s_waitcnt vmcnt(0)
	v_cmp_lt_i32_e32 vcc, v6, v4
	v_pk_mov_b32 v[8:9], 0, 0
	s_waitcnt lgkmcnt(0)
	s_and_saveexec_b64 s[6:7], vcc
	s_cbranch_execz .LBB20_33
; %bb.12:
	v_add_u32_e32 v23, -1, v4
	v_subrev_u32_e32 v24, s33, v5
	v_cmp_eq_u32_e64 s[0:1], 63, v5
	s_mov_b64 s[10:11], 0
	v_pk_mov_b32 v[8:9], 0, 0
	v_mov_b32_e32 v25, s19
	v_mov_b32_e32 v26, s21
	;; [unrolled: 1-line block ×5, first 2 shown]
	s_branch .LBB20_15
.LBB20_13:                              ;   in Loop: Header=BB20_15 Depth=1
	s_or_b64 exec, exec, s[26:27]
.LBB20_14:                              ;   in Loop: Header=BB20_15 Depth=1
	s_or_b64 exec, exec, s[24:25]
	v_add_u32_e32 v6, 1, v6
	v_cmp_ge_i32_e32 vcc, v6, v4
	s_xor_b64 s[2:3], s[2:3], -1
	s_or_b64 s[2:3], s[2:3], vcc
	s_and_b64 s[2:3], exec, s[2:3]
	s_or_b64 s[10:11], s[2:3], s[10:11]
	s_andn2_b64 exec, exec, s[10:11]
	s_cbranch_execz .LBB20_32
.LBB20_15:                              ; =>This Loop Header: Depth=1
                                        ;     Child Loop BB20_16 Depth 2
                                        ;     Child Loop BB20_22 Depth 2
                                        ;       Child Loop BB20_25 Depth 3
	v_ashrrev_i32_e32 v7, 31, v6
	v_lshlrev_b64 v[10:11], 2, v[6:7]
	v_add_co_u32_e32 v10, vcc, s18, v10
	v_addc_co_u32_e32 v11, vcc, v25, v11, vcc
	global_load_dword v14, v[10:11], off
	v_lshlrev_b64 v[10:11], 3, v[6:7]
	v_add_co_u32_e32 v10, vcc, s20, v10
	v_addc_co_u32_e32 v11, vcc, v26, v11, vcc
	global_load_dwordx2 v[12:13], v[10:11], off
	s_mov_b64 s[2:3], 0
	s_waitcnt vmcnt(1)
	v_subrev_u32_e32 v14, s33, v14
	v_ashrrev_i32_e32 v15, 31, v14
	v_lshlrev_b64 v[14:15], 2, v[14:15]
	v_add_co_u32_e32 v18, vcc, s16, v14
	v_addc_co_u32_e32 v19, vcc, v27, v15, vcc
	v_add_co_u32_e32 v20, vcc, s22, v14
	v_addc_co_u32_e32 v21, vcc, v28, v15, vcc
	global_load_dword v7, v[18:19], off
	global_load_dword v16, v[20:21], off
	v_add_co_u32_e32 v14, vcc, s8, v14
	v_addc_co_u32_e32 v15, vcc, v29, v15, vcc
.LBB20_16:                              ;   Parent Loop BB20_15 Depth=1
                                        ; =>  This Inner Loop Header: Depth=2
	global_load_dword v17, v[14:15], off glc
	s_waitcnt vmcnt(0)
	v_cmp_ne_u32_e32 vcc, 0, v17
	s_or_b64 s[2:3], vcc, s[2:3]
	s_andn2_b64 exec, exec, s[2:3]
	s_cbranch_execnz .LBB20_16
; %bb.17:                               ;   in Loop: Header=BB20_15 Depth=1
	s_or_b64 exec, exec, s[2:3]
	v_cmp_eq_u32_e32 vcc, -1, v16
	v_cndmask_b32_e32 v16, v16, v23, vcc
	v_ashrrev_i32_e32 v17, 31, v16
	v_lshlrev_b64 v[14:15], 3, v[16:17]
	v_add_co_u32_e32 v14, vcc, s20, v14
	v_addc_co_u32_e32 v15, vcc, v26, v15, vcc
	buffer_wbinvl1_vol
	global_load_dwordx2 v[14:15], v[14:15], off
	s_waitcnt vmcnt(0)
	v_cmp_neq_f64_e64 s[2:3], 0, v[14:15]
	s_and_saveexec_b64 s[24:25], s[2:3]
	s_cbranch_execz .LBB20_14
; %bb.18:                               ;   in Loop: Header=BB20_15 Depth=1
	v_add_u32_e32 v20, v24, v7
	v_cmp_lt_i32_e32 vcc, v20, v16
	v_pk_mov_b32 v[18:19], 0, 0
	s_and_saveexec_b64 s[26:27], vcc
	s_cbranch_execz .LBB20_30
; %bb.19:                               ;   in Loop: Header=BB20_15 Depth=1
	s_mov_b64 s[28:29], 0
	v_pk_mov_b32 v[18:19], 0, 0
	s_branch .LBB20_22
.LBB20_20:                              ;   in Loop: Header=BB20_22 Depth=2
	s_or_b64 exec, exec, s[34:35]
.LBB20_21:                              ;   in Loop: Header=BB20_22 Depth=2
	s_or_b64 exec, exec, s[30:31]
	v_add_u32_e32 v20, 64, v20
	v_cmp_ge_i32_e32 vcc, v20, v16
	s_or_b64 s[28:29], vcc, s[28:29]
	s_andn2_b64 exec, exec, s[28:29]
	s_cbranch_execz .LBB20_29
.LBB20_22:                              ;   Parent Loop BB20_15 Depth=1
                                        ; =>  This Loop Header: Depth=2
                                        ;       Child Loop BB20_25 Depth 3
	v_ashrrev_i32_e32 v21, 31, v20
	v_lshlrev_b64 v[30:31], 2, v[20:21]
	v_add_co_u32_e32 v30, vcc, s18, v30
	v_addc_co_u32_e32 v31, vcc, v25, v31, vcc
	global_load_dword v7, v[30:31], off
	s_waitcnt vmcnt(0)
	v_mul_lo_u32 v17, v7, 39
	v_and_b32_e32 v31, 63, v17
	v_lshl_add_u32 v17, v31, 2, v22
	ds_read_b32 v30, v17
	s_waitcnt lgkmcnt(0)
	v_cmp_ne_u32_e32 vcc, -1, v30
	s_and_saveexec_b64 s[30:31], vcc
	s_cbranch_execz .LBB20_21
; %bb.23:                               ;   in Loop: Header=BB20_22 Depth=2
	s_mov_b64 s[34:35], 0
                                        ; implicit-def: $sgpr36_sgpr37
                                        ; implicit-def: $sgpr40_sgpr41
                                        ; implicit-def: $sgpr38_sgpr39
	s_branch .LBB20_25
.LBB20_24:                              ;   in Loop: Header=BB20_25 Depth=3
	s_or_b64 exec, exec, s[42:43]
	s_and_b64 s[42:43], exec, s[40:41]
	s_or_b64 s[34:35], s[42:43], s[34:35]
	s_andn2_b64 s[36:37], s[36:37], exec
	s_and_b64 s[42:43], s[38:39], exec
	s_or_b64 s[36:37], s[36:37], s[42:43]
	s_andn2_b64 exec, exec, s[34:35]
	s_cbranch_execz .LBB20_27
.LBB20_25:                              ;   Parent Loop BB20_15 Depth=1
                                        ;     Parent Loop BB20_22 Depth=2
                                        ; =>    This Inner Loop Header: Depth=3
	v_mov_b32_e32 v17, v31
	v_cmp_ne_u32_e32 vcc, v30, v7
	s_or_b64 s[38:39], s[38:39], exec
	s_or_b64 s[40:41], s[40:41], exec
                                        ; implicit-def: $vgpr31
                                        ; implicit-def: $vgpr30
	s_and_saveexec_b64 s[42:43], vcc
	s_cbranch_execz .LBB20_24
; %bb.26:                               ;   in Loop: Header=BB20_25 Depth=3
	v_add_u32_e32 v30, 1, v17
	v_and_b32_e32 v31, 63, v30
	v_lshl_add_u32 v30, v31, 2, v22
	ds_read_b32 v30, v30
	s_andn2_b64 s[40:41], s[40:41], exec
	s_andn2_b64 s[38:39], s[38:39], exec
	s_waitcnt lgkmcnt(0)
	v_cmp_eq_u32_e32 vcc, -1, v30
	s_and_b64 s[44:45], vcc, exec
	s_or_b64 s[40:41], s[40:41], s[44:45]
	s_branch .LBB20_24
.LBB20_27:                              ;   in Loop: Header=BB20_22 Depth=2
	s_or_b64 exec, exec, s[34:35]
	s_and_saveexec_b64 s[34:35], s[36:37]
	s_xor_b64 s[34:35], exec, s[34:35]
	s_cbranch_execz .LBB20_20
; %bb.28:                               ;   in Loop: Header=BB20_22 Depth=2
	v_lshl_add_u32 v7, v17, 2, v3
	ds_read_b32 v30, v7
	v_lshlrev_b64 v[32:33], 3, v[20:21]
	v_mov_b32_e32 v7, s21
	v_add_co_u32_e32 v32, vcc, s20, v32
	s_waitcnt lgkmcnt(0)
	v_ashrrev_i32_e32 v31, 31, v30
	v_addc_co_u32_e32 v33, vcc, v7, v33, vcc
	v_lshlrev_b64 v[30:31], 3, v[30:31]
	v_add_co_u32_e32 v30, vcc, s20, v30
	v_addc_co_u32_e32 v31, vcc, v7, v31, vcc
	global_load_dwordx2 v[34:35], v[32:33], off
	global_load_dwordx2 v[36:37], v[30:31], off
	s_waitcnt vmcnt(0)
	v_fmac_f64_e32 v[18:19], v[34:35], v[36:37]
	s_branch .LBB20_20
.LBB20_29:                              ;   in Loop: Header=BB20_15 Depth=1
	s_or_b64 exec, exec, s[28:29]
.LBB20_30:                              ;   in Loop: Header=BB20_15 Depth=1
	s_or_b64 exec, exec, s[26:27]
	v_mov_b32_dpp v16, v18 row_shr:1 row_mask:0xf bank_mask:0xf
	v_mov_b32_dpp v17, v19 row_shr:1 row_mask:0xf bank_mask:0xf
	v_add_f64 v[16:17], v[18:19], v[16:17]
	s_nop 1
	v_mov_b32_dpp v18, v16 row_shr:2 row_mask:0xf bank_mask:0xf
	v_mov_b32_dpp v19, v17 row_shr:2 row_mask:0xf bank_mask:0xf
	v_add_f64 v[16:17], v[16:17], v[18:19]
	s_nop 1
	;; [unrolled: 4-line block ×4, first 2 shown]
	v_mov_b32_dpp v18, v16 row_bcast:15 row_mask:0xa bank_mask:0xf
	v_mov_b32_dpp v19, v17 row_bcast:15 row_mask:0xa bank_mask:0xf
	v_add_f64 v[16:17], v[16:17], v[18:19]
	s_nop 1
	v_mov_b32_dpp v18, v16 row_bcast:31 row_mask:0xc bank_mask:0xf
	v_mov_b32_dpp v19, v17 row_bcast:31 row_mask:0xc bank_mask:0xf
	s_and_saveexec_b64 s[26:27], s[0:1]
	s_cbranch_execz .LBB20_13
; %bb.31:                               ;   in Loop: Header=BB20_15 Depth=1
	v_div_scale_f64 v[20:21], s[28:29], v[14:15], v[14:15], 1.0
	v_rcp_f64_e32 v[30:31], v[20:21]
	v_div_scale_f64 v[32:33], vcc, 1.0, v[14:15], 1.0
	v_add_f64 v[16:17], v[16:17], v[18:19]
	v_fma_f64 v[34:35], -v[20:21], v[30:31], 1.0
	v_fmac_f64_e32 v[30:31], v[30:31], v[34:35]
	v_fma_f64 v[34:35], -v[20:21], v[30:31], 1.0
	v_fmac_f64_e32 v[30:31], v[30:31], v[34:35]
	v_mul_f64 v[34:35], v[32:33], v[30:31]
	v_fma_f64 v[20:21], -v[20:21], v[34:35], v[32:33]
	v_div_fmas_f64 v[20:21], v[20:21], v[30:31], v[34:35]
	v_div_fixup_f64 v[14:15], v[20:21], v[14:15], 1.0
	v_add_f64 v[12:13], v[12:13], -v[16:17]
	v_mul_f64 v[12:13], v[14:15], v[12:13]
	v_fmac_f64_e32 v[8:9], v[12:13], v[12:13]
	global_store_dwordx2 v[10:11], v[12:13], off
	s_branch .LBB20_13
.LBB20_32:
	s_or_b64 exec, exec, s[10:11]
.LBB20_33:
	s_or_b64 exec, exec, s[6:7]
	v_cmp_eq_u32_e32 vcc, 63, v5
	v_cmp_lt_i32_e64 s[0:1], -1, v4
	s_and_b64 s[0:1], vcc, s[0:1]
	s_and_saveexec_b64 s[2:3], s[0:1]
	s_cbranch_execz .LBB20_44
; %bb.34:
	v_mov_b32_e32 v5, 0
	v_lshlrev_b64 v[4:5], 3, v[4:5]
	v_mov_b32_e32 v3, s21
	v_add_co_u32_e64 v4, s[0:1], s20, v4
	v_addc_co_u32_e64 v5, s[0:1], v3, v5, s[0:1]
	global_load_dwordx2 v[6:7], v[4:5], off
	s_load_dwordx2 s[0:1], s[4:5], 0x48
	v_add_u32_e32 v2, s33, v2
	s_waitcnt lgkmcnt(0)
	v_mul_f64 v[10:11], s[0:1], s[0:1]
	s_waitcnt vmcnt(0)
	v_add_f64 v[6:7], v[6:7], -v[8:9]
	v_cmp_le_f64_e64 s[0:1], v[6:7], v[10:11]
	s_and_saveexec_b64 s[4:5], s[0:1]
	s_cbranch_execz .LBB20_39
; %bb.35:
	s_mov_b64 s[0:1], exec
	s_brev_b32 s6, -2
.LBB20_36:                              ; =>This Inner Loop Header: Depth=1
	s_ff1_i32_b64 s7, s[0:1]
	v_readlane_b32 s16, v2, s7
	s_lshl_b64 s[10:11], 1, s7
	s_min_i32 s6, s6, s16
	s_andn2_b64 s[0:1], s[0:1], s[10:11]
	s_cmp_lg_u64 s[0:1], 0
	s_cbranch_scc1 .LBB20_36
; %bb.37:
	v_mbcnt_lo_u32_b32 v3, exec_lo, 0
	v_mbcnt_hi_u32_b32 v3, exec_hi, v3
	v_cmp_eq_u32_e64 s[0:1], 0, v3
	s_and_saveexec_b64 s[10:11], s[0:1]
	s_xor_b64 s[10:11], exec, s[10:11]
	s_cbranch_execz .LBB20_39
; %bb.38:
	v_mov_b32_e32 v3, 0
	v_mov_b32_e32 v8, s6
	global_atomic_smin v3, v8, s[14:15]
.LBB20_39:
	s_or_b64 exec, exec, s[4:5]
	v_xor_b32_e32 v3, 0x80000000, v7
	v_cmp_gt_f64_e64 s[0:1], 0, v[6:7]
	v_cndmask_b32_e64 v7, v7, v3, s[0:1]
	v_cndmask_b32_e64 v6, v6, v6, s[0:1]
	s_mov_b32 s0, 0
	s_brev_b32 s1, 8
	v_cmp_gt_f64_e64 s[0:1], s[0:1], v[6:7]
	v_cndmask_b32_e64 v3, 0, 1, s[0:1]
	v_lshlrev_b32_e32 v3, 8, v3
	v_ldexp_f64 v[6:7], v[6:7], v3
	v_rsq_f64_e32 v[8:9], v[6:7]
	v_mov_b32_e32 v3, 0xffffff80
	v_cndmask_b32_e64 v3, 0, v3, s[0:1]
	v_mul_f64 v[10:11], v[6:7], v[8:9]
	v_mul_f64 v[8:9], v[8:9], 0.5
	v_fma_f64 v[12:13], -v[8:9], v[10:11], 0.5
	v_fmac_f64_e32 v[10:11], v[10:11], v[12:13]
	v_fma_f64 v[14:15], -v[10:11], v[10:11], v[6:7]
	v_fmac_f64_e32 v[8:9], v[8:9], v[12:13]
	v_fmac_f64_e32 v[10:11], v[14:15], v[8:9]
	v_fma_f64 v[12:13], -v[10:11], v[10:11], v[6:7]
	v_fmac_f64_e32 v[10:11], v[12:13], v[8:9]
	v_ldexp_f64 v[8:9], v[10:11], v3
	v_mov_b32_e32 v3, 0x260
	v_cmp_class_f64_e64 s[0:1], v[6:7], v3
	v_cndmask_b32_e64 v7, v9, v7, s[0:1]
	v_cndmask_b32_e64 v6, v8, v6, s[0:1]
	v_cmp_eq_f64_e64 s[0:1], 0, v[6:7]
	global_store_dwordx2 v[4:5], v[6:7], off
	s_and_b64 exec, exec, s[0:1]
	s_cbranch_execz .LBB20_44
; %bb.40:
	s_mov_b64 s[0:1], exec
	s_brev_b32 s4, -2
.LBB20_41:                              ; =>This Inner Loop Header: Depth=1
	s_ff1_i32_b64 s5, s[0:1]
	v_readlane_b32 s10, v2, s5
	s_lshl_b64 s[6:7], 1, s5
	s_min_i32 s4, s4, s10
	s_andn2_b64 s[0:1], s[0:1], s[6:7]
	s_cmp_lg_u64 s[0:1], 0
	s_cbranch_scc1 .LBB20_41
; %bb.42:
	v_mbcnt_lo_u32_b32 v2, exec_lo, 0
	v_mbcnt_hi_u32_b32 v2, exec_hi, v2
	v_cmp_eq_u32_e64 s[0:1], 0, v2
	s_and_saveexec_b64 s[6:7], s[0:1]
	s_xor_b64 s[6:7], exec, s[6:7]
	s_cbranch_execz .LBB20_44
; %bb.43:
	v_mov_b32_e32 v2, 0
	v_mov_b32_e32 v3, s4
	global_atomic_smin v2, v3, s[12:13]
.LBB20_44:
	s_or_b64 exec, exec, s[2:3]
	s_and_b64 exec, exec, vcc
	s_cbranch_execz .LBB20_46
; %bb.45:
	v_mov_b32_e32 v2, s9
	v_add_co_u32_e32 v0, vcc, s8, v0
	v_addc_co_u32_e32 v1, vcc, v2, v1, vcc
	v_mov_b32_e32 v2, 1
	s_waitcnt vmcnt(0)
	global_store_dword v[0:1], v2, off
.LBB20_46:
	s_endpgm
	.section	.rodata,"a",@progbits
	.p2align	6, 0x0
	.amdhsa_kernel _ZN9rocsparseL18csric0_hash_kernelILj256ELj64ELj1EdEEviPKiS2_PT2_S2_PiS2_S5_S5_d21rocsparse_index_base_
		.amdhsa_group_segment_fixed_size 2048
		.amdhsa_private_segment_fixed_size 0
		.amdhsa_kernarg_size 84
		.amdhsa_user_sgpr_count 6
		.amdhsa_user_sgpr_private_segment_buffer 1
		.amdhsa_user_sgpr_dispatch_ptr 0
		.amdhsa_user_sgpr_queue_ptr 0
		.amdhsa_user_sgpr_kernarg_segment_ptr 1
		.amdhsa_user_sgpr_dispatch_id 0
		.amdhsa_user_sgpr_flat_scratch_init 0
		.amdhsa_user_sgpr_kernarg_preload_length 0
		.amdhsa_user_sgpr_kernarg_preload_offset 0
		.amdhsa_user_sgpr_private_segment_size 0
		.amdhsa_uses_dynamic_stack 0
		.amdhsa_system_sgpr_private_segment_wavefront_offset 0
		.amdhsa_system_sgpr_workgroup_id_x 1
		.amdhsa_system_sgpr_workgroup_id_y 0
		.amdhsa_system_sgpr_workgroup_id_z 0
		.amdhsa_system_sgpr_workgroup_info 0
		.amdhsa_system_vgpr_workitem_id 0
		.amdhsa_next_free_vgpr 38
		.amdhsa_next_free_sgpr 46
		.amdhsa_accum_offset 40
		.amdhsa_reserve_vcc 1
		.amdhsa_reserve_flat_scratch 0
		.amdhsa_float_round_mode_32 0
		.amdhsa_float_round_mode_16_64 0
		.amdhsa_float_denorm_mode_32 3
		.amdhsa_float_denorm_mode_16_64 3
		.amdhsa_dx10_clamp 1
		.amdhsa_ieee_mode 1
		.amdhsa_fp16_overflow 0
		.amdhsa_tg_split 0
		.amdhsa_exception_fp_ieee_invalid_op 0
		.amdhsa_exception_fp_denorm_src 0
		.amdhsa_exception_fp_ieee_div_zero 0
		.amdhsa_exception_fp_ieee_overflow 0
		.amdhsa_exception_fp_ieee_underflow 0
		.amdhsa_exception_fp_ieee_inexact 0
		.amdhsa_exception_int_div_zero 0
	.end_amdhsa_kernel
	.section	.text._ZN9rocsparseL18csric0_hash_kernelILj256ELj64ELj1EdEEviPKiS2_PT2_S2_PiS2_S5_S5_d21rocsparse_index_base_,"axG",@progbits,_ZN9rocsparseL18csric0_hash_kernelILj256ELj64ELj1EdEEviPKiS2_PT2_S2_PiS2_S5_S5_d21rocsparse_index_base_,comdat
.Lfunc_end20:
	.size	_ZN9rocsparseL18csric0_hash_kernelILj256ELj64ELj1EdEEviPKiS2_PT2_S2_PiS2_S5_S5_d21rocsparse_index_base_, .Lfunc_end20-_ZN9rocsparseL18csric0_hash_kernelILj256ELj64ELj1EdEEviPKiS2_PT2_S2_PiS2_S5_S5_d21rocsparse_index_base_
                                        ; -- End function
	.section	.AMDGPU.csdata,"",@progbits
; Kernel info:
; codeLenInByte = 2056
; NumSgprs: 50
; NumVgprs: 38
; NumAgprs: 0
; TotalNumVgprs: 38
; ScratchSize: 0
; MemoryBound: 0
; FloatMode: 240
; IeeeMode: 1
; LDSByteSize: 2048 bytes/workgroup (compile time only)
; SGPRBlocks: 6
; VGPRBlocks: 4
; NumSGPRsForWavesPerEU: 50
; NumVGPRsForWavesPerEU: 38
; AccumOffset: 40
; Occupancy: 8
; WaveLimiterHint : 1
; COMPUTE_PGM_RSRC2:SCRATCH_EN: 0
; COMPUTE_PGM_RSRC2:USER_SGPR: 6
; COMPUTE_PGM_RSRC2:TRAP_HANDLER: 0
; COMPUTE_PGM_RSRC2:TGID_X_EN: 1
; COMPUTE_PGM_RSRC2:TGID_Y_EN: 0
; COMPUTE_PGM_RSRC2:TGID_Z_EN: 0
; COMPUTE_PGM_RSRC2:TIDIG_COMP_CNT: 0
; COMPUTE_PGM_RSRC3_GFX90A:ACCUM_OFFSET: 9
; COMPUTE_PGM_RSRC3_GFX90A:TG_SPLIT: 0
	.section	.text._ZN9rocsparseL18csric0_hash_kernelILj256ELj64ELj2EdEEviPKiS2_PT2_S2_PiS2_S5_S5_d21rocsparse_index_base_,"axG",@progbits,_ZN9rocsparseL18csric0_hash_kernelILj256ELj64ELj2EdEEviPKiS2_PT2_S2_PiS2_S5_S5_d21rocsparse_index_base_,comdat
	.globl	_ZN9rocsparseL18csric0_hash_kernelILj256ELj64ELj2EdEEviPKiS2_PT2_S2_PiS2_S5_S5_d21rocsparse_index_base_ ; -- Begin function _ZN9rocsparseL18csric0_hash_kernelILj256ELj64ELj2EdEEviPKiS2_PT2_S2_PiS2_S5_S5_d21rocsparse_index_base_
	.p2align	8
	.type	_ZN9rocsparseL18csric0_hash_kernelILj256ELj64ELj2EdEEviPKiS2_PT2_S2_PiS2_S5_S5_d21rocsparse_index_base_,@function
_ZN9rocsparseL18csric0_hash_kernelILj256ELj64ELj2EdEEviPKiS2_PT2_S2_PiS2_S5_S5_d21rocsparse_index_base_: ; @_ZN9rocsparseL18csric0_hash_kernelILj256ELj64ELj2EdEEviPKiS2_PT2_S2_PiS2_S5_S5_d21rocsparse_index_base_
; %bb.0:
	s_load_dword s0, s[4:5], 0x0
	v_lshlrev_b32_e32 v1, 1, v0
	s_lshl_b32 s1, s6, 2
	v_and_b32_e32 v5, 63, v0
	v_and_b32_e32 v6, 0x180, v1
	v_mov_b32_e32 v1, 0x800
	v_lshrrev_b32_e32 v0, 6, v0
	s_and_b32 s1, s1, 0x3fffffc
	v_lshl_or_b32 v22, v6, 2, v1
	v_or_b32_e32 v0, s1, v0
	v_lshl_or_b32 v1, v5, 2, v22
	v_mov_b32_e32 v2, -1
	s_waitcnt lgkmcnt(0)
	v_cmp_gt_i32_e32 vcc, s0, v0
	ds_write2st64_b32 v1, v2, v2 offset1:1
	s_waitcnt lgkmcnt(0)
	s_and_saveexec_b64 s[0:1], vcc
	s_cbranch_execz .LBB21_46
; %bb.1:
	s_load_dwordx8 s[8:15], s[4:5], 0x28
	v_lshlrev_b32_e32 v0, 2, v0
	s_load_dwordx8 s[16:23], s[4:5], 0x8
	s_load_dword s33, s[4:5], 0x50
	s_waitcnt lgkmcnt(0)
	global_load_dword v2, v0, s[10:11]
	v_mov_b32_e32 v7, s17
	v_mov_b32_e32 v4, s23
	s_waitcnt vmcnt(0)
	v_ashrrev_i32_e32 v3, 31, v2
	v_lshlrev_b64 v[0:1], 2, v[2:3]
	v_add_co_u32_e32 v8, vcc, s16, v0
	v_addc_co_u32_e32 v9, vcc, v7, v1, vcc
	global_load_dwordx2 v[8:9], v[8:9], off
	v_add_co_u32_e32 v10, vcc, s22, v0
	v_addc_co_u32_e32 v11, vcc, v4, v1, vcc
	global_load_dword v4, v[10:11], off
	v_lshlrev_b32_e32 v3, 2, v6
	s_waitcnt vmcnt(1)
	v_subrev_u32_e32 v6, s33, v8
	v_subrev_u32_e32 v7, s33, v9
	v_add_u32_e32 v8, v6, v5
	v_cmp_lt_i32_e32 vcc, v8, v7
	s_and_saveexec_b64 s[0:1], vcc
	s_cbranch_execz .LBB21_11
; %bb.2:
	s_mov_b64 s[2:3], 0
	v_mov_b32_e32 v10, s19
	s_movk_i32 s34, 0x67
	v_mov_b32_e32 v11, -1
	s_branch .LBB21_4
.LBB21_3:                               ;   in Loop: Header=BB21_4 Depth=1
	s_or_b64 exec, exec, s[6:7]
	v_add_u32_e32 v8, 64, v8
	v_cmp_ge_i32_e32 vcc, v8, v7
	s_or_b64 s[2:3], vcc, s[2:3]
	s_andn2_b64 exec, exec, s[2:3]
	s_cbranch_execz .LBB21_11
.LBB21_4:                               ; =>This Loop Header: Depth=1
                                        ;     Child Loop BB21_7 Depth 2
	v_ashrrev_i32_e32 v9, 31, v8
	v_lshlrev_b64 v[12:13], 2, v[8:9]
	v_add_co_u32_e32 v12, vcc, s18, v12
	v_addc_co_u32_e32 v13, vcc, v10, v13, vcc
	global_load_dword v9, v[12:13], off
	s_waitcnt vmcnt(0)
	v_mul_lo_u32 v12, v9, s34
	v_and_b32_e32 v12, 0x7f, v12
	v_lshl_add_u32 v13, v12, 2, v22
	ds_read_b32 v14, v13
	s_waitcnt lgkmcnt(0)
	v_cmp_ne_u32_e32 vcc, v14, v9
	s_and_saveexec_b64 s[6:7], vcc
	s_cbranch_execz .LBB21_3
; %bb.5:                                ;   in Loop: Header=BB21_4 Depth=1
	s_mov_b64 s[10:11], 0
                                        ; implicit-def: $sgpr24_sgpr25
                                        ; implicit-def: $sgpr28_sgpr29
                                        ; implicit-def: $sgpr26_sgpr27
	s_branch .LBB21_7
.LBB21_6:                               ;   in Loop: Header=BB21_7 Depth=2
	s_or_b64 exec, exec, s[30:31]
	s_and_b64 s[30:31], exec, s[28:29]
	s_or_b64 s[10:11], s[30:31], s[10:11]
	s_andn2_b64 s[24:25], s[24:25], exec
	s_and_b64 s[30:31], s[26:27], exec
	s_or_b64 s[24:25], s[24:25], s[30:31]
	s_andn2_b64 exec, exec, s[10:11]
	s_cbranch_execz .LBB21_9
.LBB21_7:                               ;   Parent Loop BB21_4 Depth=1
                                        ; =>  This Inner Loop Header: Depth=2
	ds_cmpst_rtn_b32 v13, v13, v11, v9
	v_mov_b32_e32 v14, v12
	s_or_b64 s[26:27], s[26:27], exec
	s_or_b64 s[28:29], s[28:29], exec
                                        ; implicit-def: $vgpr12
	s_waitcnt lgkmcnt(0)
	v_cmp_ne_u32_e32 vcc, -1, v13
                                        ; implicit-def: $vgpr13
	s_and_saveexec_b64 s[30:31], vcc
	s_cbranch_execz .LBB21_6
; %bb.8:                                ;   in Loop: Header=BB21_7 Depth=2
	v_add_u32_e32 v12, 1, v14
	v_and_b32_e32 v12, 0x7f, v12
	v_lshl_add_u32 v13, v12, 2, v22
	ds_read_b32 v15, v13
	s_andn2_b64 s[28:29], s[28:29], exec
	s_andn2_b64 s[26:27], s[26:27], exec
	s_waitcnt lgkmcnt(0)
	v_cmp_eq_u32_e32 vcc, v15, v9
	s_and_b64 s[36:37], vcc, exec
	s_or_b64 s[28:29], s[28:29], s[36:37]
	s_branch .LBB21_6
.LBB21_9:                               ;   in Loop: Header=BB21_4 Depth=1
	s_or_b64 exec, exec, s[10:11]
	s_and_saveexec_b64 s[10:11], s[24:25]
	s_xor_b64 s[10:11], exec, s[10:11]
	s_cbranch_execz .LBB21_3
; %bb.10:                               ;   in Loop: Header=BB21_4 Depth=1
	v_lshl_add_u32 v9, v14, 2, v3
	ds_write_b32 v9, v8
	s_branch .LBB21_3
.LBB21_11:
	s_or_b64 exec, exec, s[0:1]
	s_waitcnt vmcnt(0)
	v_cmp_lt_i32_e32 vcc, v6, v4
	v_pk_mov_b32 v[8:9], 0, 0
	s_waitcnt lgkmcnt(0)
	s_and_saveexec_b64 s[6:7], vcc
	s_cbranch_execz .LBB21_33
; %bb.12:
	v_add_u32_e32 v23, -1, v4
	v_subrev_u32_e32 v24, s33, v5
	v_cmp_eq_u32_e64 s[0:1], 63, v5
	s_mov_b64 s[10:11], 0
	v_pk_mov_b32 v[8:9], 0, 0
	v_mov_b32_e32 v25, s19
	v_mov_b32_e32 v26, s21
	;; [unrolled: 1-line block ×5, first 2 shown]
	s_movk_i32 s17, 0x67
	s_branch .LBB21_15
.LBB21_13:                              ;   in Loop: Header=BB21_15 Depth=1
	s_or_b64 exec, exec, s[26:27]
.LBB21_14:                              ;   in Loop: Header=BB21_15 Depth=1
	s_or_b64 exec, exec, s[24:25]
	v_add_u32_e32 v6, 1, v6
	v_cmp_ge_i32_e32 vcc, v6, v4
	s_xor_b64 s[2:3], s[2:3], -1
	s_or_b64 s[2:3], s[2:3], vcc
	s_and_b64 s[2:3], exec, s[2:3]
	s_or_b64 s[10:11], s[2:3], s[10:11]
	s_andn2_b64 exec, exec, s[10:11]
	s_cbranch_execz .LBB21_32
.LBB21_15:                              ; =>This Loop Header: Depth=1
                                        ;     Child Loop BB21_16 Depth 2
                                        ;     Child Loop BB21_22 Depth 2
                                        ;       Child Loop BB21_25 Depth 3
	v_ashrrev_i32_e32 v7, 31, v6
	v_lshlrev_b64 v[10:11], 2, v[6:7]
	v_add_co_u32_e32 v10, vcc, s18, v10
	v_addc_co_u32_e32 v11, vcc, v25, v11, vcc
	global_load_dword v14, v[10:11], off
	v_lshlrev_b64 v[10:11], 3, v[6:7]
	v_add_co_u32_e32 v10, vcc, s20, v10
	v_addc_co_u32_e32 v11, vcc, v26, v11, vcc
	global_load_dwordx2 v[12:13], v[10:11], off
	s_mov_b64 s[2:3], 0
	s_waitcnt vmcnt(1)
	v_subrev_u32_e32 v14, s33, v14
	v_ashrrev_i32_e32 v15, 31, v14
	v_lshlrev_b64 v[14:15], 2, v[14:15]
	v_add_co_u32_e32 v18, vcc, s16, v14
	v_addc_co_u32_e32 v19, vcc, v27, v15, vcc
	v_add_co_u32_e32 v20, vcc, s22, v14
	v_addc_co_u32_e32 v21, vcc, v28, v15, vcc
	global_load_dword v7, v[18:19], off
	global_load_dword v16, v[20:21], off
	v_add_co_u32_e32 v14, vcc, s8, v14
	v_addc_co_u32_e32 v15, vcc, v29, v15, vcc
.LBB21_16:                              ;   Parent Loop BB21_15 Depth=1
                                        ; =>  This Inner Loop Header: Depth=2
	global_load_dword v17, v[14:15], off glc
	s_waitcnt vmcnt(0)
	v_cmp_ne_u32_e32 vcc, 0, v17
	s_or_b64 s[2:3], vcc, s[2:3]
	s_andn2_b64 exec, exec, s[2:3]
	s_cbranch_execnz .LBB21_16
; %bb.17:                               ;   in Loop: Header=BB21_15 Depth=1
	s_or_b64 exec, exec, s[2:3]
	v_cmp_eq_u32_e32 vcc, -1, v16
	v_cndmask_b32_e32 v16, v16, v23, vcc
	v_ashrrev_i32_e32 v17, 31, v16
	v_lshlrev_b64 v[14:15], 3, v[16:17]
	v_add_co_u32_e32 v14, vcc, s20, v14
	v_addc_co_u32_e32 v15, vcc, v26, v15, vcc
	buffer_wbinvl1_vol
	global_load_dwordx2 v[14:15], v[14:15], off
	s_waitcnt vmcnt(0)
	v_cmp_neq_f64_e64 s[2:3], 0, v[14:15]
	s_and_saveexec_b64 s[24:25], s[2:3]
	s_cbranch_execz .LBB21_14
; %bb.18:                               ;   in Loop: Header=BB21_15 Depth=1
	v_add_u32_e32 v20, v24, v7
	v_cmp_lt_i32_e32 vcc, v20, v16
	v_pk_mov_b32 v[18:19], 0, 0
	s_and_saveexec_b64 s[26:27], vcc
	s_cbranch_execz .LBB21_30
; %bb.19:                               ;   in Loop: Header=BB21_15 Depth=1
	s_mov_b64 s[28:29], 0
	v_pk_mov_b32 v[18:19], 0, 0
	s_branch .LBB21_22
.LBB21_20:                              ;   in Loop: Header=BB21_22 Depth=2
	s_or_b64 exec, exec, s[34:35]
.LBB21_21:                              ;   in Loop: Header=BB21_22 Depth=2
	s_or_b64 exec, exec, s[30:31]
	v_add_u32_e32 v20, 64, v20
	v_cmp_ge_i32_e32 vcc, v20, v16
	s_or_b64 s[28:29], vcc, s[28:29]
	s_andn2_b64 exec, exec, s[28:29]
	s_cbranch_execz .LBB21_29
.LBB21_22:                              ;   Parent Loop BB21_15 Depth=1
                                        ; =>  This Loop Header: Depth=2
                                        ;       Child Loop BB21_25 Depth 3
	v_ashrrev_i32_e32 v21, 31, v20
	v_lshlrev_b64 v[30:31], 2, v[20:21]
	v_add_co_u32_e32 v30, vcc, s18, v30
	v_addc_co_u32_e32 v31, vcc, v25, v31, vcc
	global_load_dword v7, v[30:31], off
	s_waitcnt vmcnt(0)
	v_mul_lo_u32 v17, v7, s17
	v_and_b32_e32 v31, 0x7f, v17
	v_lshl_add_u32 v17, v31, 2, v22
	ds_read_b32 v30, v17
	s_waitcnt lgkmcnt(0)
	v_cmp_ne_u32_e32 vcc, -1, v30
	s_and_saveexec_b64 s[30:31], vcc
	s_cbranch_execz .LBB21_21
; %bb.23:                               ;   in Loop: Header=BB21_22 Depth=2
	s_mov_b64 s[34:35], 0
                                        ; implicit-def: $sgpr36_sgpr37
                                        ; implicit-def: $sgpr40_sgpr41
                                        ; implicit-def: $sgpr38_sgpr39
	s_branch .LBB21_25
.LBB21_24:                              ;   in Loop: Header=BB21_25 Depth=3
	s_or_b64 exec, exec, s[42:43]
	s_and_b64 s[42:43], exec, s[40:41]
	s_or_b64 s[34:35], s[42:43], s[34:35]
	s_andn2_b64 s[36:37], s[36:37], exec
	s_and_b64 s[42:43], s[38:39], exec
	s_or_b64 s[36:37], s[36:37], s[42:43]
	s_andn2_b64 exec, exec, s[34:35]
	s_cbranch_execz .LBB21_27
.LBB21_25:                              ;   Parent Loop BB21_15 Depth=1
                                        ;     Parent Loop BB21_22 Depth=2
                                        ; =>    This Inner Loop Header: Depth=3
	v_mov_b32_e32 v17, v31
	v_cmp_ne_u32_e32 vcc, v30, v7
	s_or_b64 s[38:39], s[38:39], exec
	s_or_b64 s[40:41], s[40:41], exec
                                        ; implicit-def: $vgpr31
                                        ; implicit-def: $vgpr30
	s_and_saveexec_b64 s[42:43], vcc
	s_cbranch_execz .LBB21_24
; %bb.26:                               ;   in Loop: Header=BB21_25 Depth=3
	v_add_u32_e32 v30, 1, v17
	v_and_b32_e32 v31, 0x7f, v30
	v_lshl_add_u32 v30, v31, 2, v22
	ds_read_b32 v30, v30
	s_andn2_b64 s[40:41], s[40:41], exec
	s_andn2_b64 s[38:39], s[38:39], exec
	s_waitcnt lgkmcnt(0)
	v_cmp_eq_u32_e32 vcc, -1, v30
	s_and_b64 s[44:45], vcc, exec
	s_or_b64 s[40:41], s[40:41], s[44:45]
	s_branch .LBB21_24
.LBB21_27:                              ;   in Loop: Header=BB21_22 Depth=2
	s_or_b64 exec, exec, s[34:35]
	s_and_saveexec_b64 s[34:35], s[36:37]
	s_xor_b64 s[34:35], exec, s[34:35]
	s_cbranch_execz .LBB21_20
; %bb.28:                               ;   in Loop: Header=BB21_22 Depth=2
	v_lshl_add_u32 v7, v17, 2, v3
	ds_read_b32 v30, v7
	v_lshlrev_b64 v[32:33], 3, v[20:21]
	v_mov_b32_e32 v7, s21
	v_add_co_u32_e32 v32, vcc, s20, v32
	s_waitcnt lgkmcnt(0)
	v_ashrrev_i32_e32 v31, 31, v30
	v_addc_co_u32_e32 v33, vcc, v7, v33, vcc
	v_lshlrev_b64 v[30:31], 3, v[30:31]
	v_add_co_u32_e32 v30, vcc, s20, v30
	v_addc_co_u32_e32 v31, vcc, v7, v31, vcc
	global_load_dwordx2 v[34:35], v[32:33], off
	global_load_dwordx2 v[36:37], v[30:31], off
	s_waitcnt vmcnt(0)
	v_fmac_f64_e32 v[18:19], v[34:35], v[36:37]
	s_branch .LBB21_20
.LBB21_29:                              ;   in Loop: Header=BB21_15 Depth=1
	s_or_b64 exec, exec, s[28:29]
.LBB21_30:                              ;   in Loop: Header=BB21_15 Depth=1
	s_or_b64 exec, exec, s[26:27]
	v_mov_b32_dpp v16, v18 row_shr:1 row_mask:0xf bank_mask:0xf
	v_mov_b32_dpp v17, v19 row_shr:1 row_mask:0xf bank_mask:0xf
	v_add_f64 v[16:17], v[18:19], v[16:17]
	s_nop 1
	v_mov_b32_dpp v18, v16 row_shr:2 row_mask:0xf bank_mask:0xf
	v_mov_b32_dpp v19, v17 row_shr:2 row_mask:0xf bank_mask:0xf
	v_add_f64 v[16:17], v[16:17], v[18:19]
	s_nop 1
	;; [unrolled: 4-line block ×4, first 2 shown]
	v_mov_b32_dpp v18, v16 row_bcast:15 row_mask:0xa bank_mask:0xf
	v_mov_b32_dpp v19, v17 row_bcast:15 row_mask:0xa bank_mask:0xf
	v_add_f64 v[16:17], v[16:17], v[18:19]
	s_nop 1
	v_mov_b32_dpp v18, v16 row_bcast:31 row_mask:0xc bank_mask:0xf
	v_mov_b32_dpp v19, v17 row_bcast:31 row_mask:0xc bank_mask:0xf
	s_and_saveexec_b64 s[26:27], s[0:1]
	s_cbranch_execz .LBB21_13
; %bb.31:                               ;   in Loop: Header=BB21_15 Depth=1
	v_div_scale_f64 v[20:21], s[28:29], v[14:15], v[14:15], 1.0
	v_rcp_f64_e32 v[30:31], v[20:21]
	v_div_scale_f64 v[32:33], vcc, 1.0, v[14:15], 1.0
	v_add_f64 v[16:17], v[16:17], v[18:19]
	v_fma_f64 v[34:35], -v[20:21], v[30:31], 1.0
	v_fmac_f64_e32 v[30:31], v[30:31], v[34:35]
	v_fma_f64 v[34:35], -v[20:21], v[30:31], 1.0
	v_fmac_f64_e32 v[30:31], v[30:31], v[34:35]
	v_mul_f64 v[34:35], v[32:33], v[30:31]
	v_fma_f64 v[20:21], -v[20:21], v[34:35], v[32:33]
	v_div_fmas_f64 v[20:21], v[20:21], v[30:31], v[34:35]
	v_div_fixup_f64 v[14:15], v[20:21], v[14:15], 1.0
	v_add_f64 v[12:13], v[12:13], -v[16:17]
	v_mul_f64 v[12:13], v[14:15], v[12:13]
	v_fmac_f64_e32 v[8:9], v[12:13], v[12:13]
	global_store_dwordx2 v[10:11], v[12:13], off
	s_branch .LBB21_13
.LBB21_32:
	s_or_b64 exec, exec, s[10:11]
.LBB21_33:
	s_or_b64 exec, exec, s[6:7]
	v_cmp_eq_u32_e32 vcc, 63, v5
	v_cmp_lt_i32_e64 s[0:1], -1, v4
	s_and_b64 s[0:1], vcc, s[0:1]
	s_and_saveexec_b64 s[2:3], s[0:1]
	s_cbranch_execz .LBB21_44
; %bb.34:
	v_mov_b32_e32 v5, 0
	v_lshlrev_b64 v[4:5], 3, v[4:5]
	v_mov_b32_e32 v3, s21
	v_add_co_u32_e64 v4, s[0:1], s20, v4
	v_addc_co_u32_e64 v5, s[0:1], v3, v5, s[0:1]
	global_load_dwordx2 v[6:7], v[4:5], off
	s_load_dwordx2 s[0:1], s[4:5], 0x48
	v_add_u32_e32 v2, s33, v2
	s_waitcnt lgkmcnt(0)
	v_mul_f64 v[10:11], s[0:1], s[0:1]
	s_waitcnt vmcnt(0)
	v_add_f64 v[6:7], v[6:7], -v[8:9]
	v_cmp_le_f64_e64 s[0:1], v[6:7], v[10:11]
	s_and_saveexec_b64 s[4:5], s[0:1]
	s_cbranch_execz .LBB21_39
; %bb.35:
	s_mov_b64 s[0:1], exec
	s_brev_b32 s6, -2
.LBB21_36:                              ; =>This Inner Loop Header: Depth=1
	s_ff1_i32_b64 s7, s[0:1]
	v_readlane_b32 s16, v2, s7
	s_lshl_b64 s[10:11], 1, s7
	s_min_i32 s6, s6, s16
	s_andn2_b64 s[0:1], s[0:1], s[10:11]
	s_cmp_lg_u64 s[0:1], 0
	s_cbranch_scc1 .LBB21_36
; %bb.37:
	v_mbcnt_lo_u32_b32 v3, exec_lo, 0
	v_mbcnt_hi_u32_b32 v3, exec_hi, v3
	v_cmp_eq_u32_e64 s[0:1], 0, v3
	s_and_saveexec_b64 s[10:11], s[0:1]
	s_xor_b64 s[10:11], exec, s[10:11]
	s_cbranch_execz .LBB21_39
; %bb.38:
	v_mov_b32_e32 v3, 0
	v_mov_b32_e32 v8, s6
	global_atomic_smin v3, v8, s[14:15]
.LBB21_39:
	s_or_b64 exec, exec, s[4:5]
	v_xor_b32_e32 v3, 0x80000000, v7
	v_cmp_gt_f64_e64 s[0:1], 0, v[6:7]
	v_cndmask_b32_e64 v7, v7, v3, s[0:1]
	v_cndmask_b32_e64 v6, v6, v6, s[0:1]
	s_mov_b32 s0, 0
	s_brev_b32 s1, 8
	v_cmp_gt_f64_e64 s[0:1], s[0:1], v[6:7]
	v_cndmask_b32_e64 v3, 0, 1, s[0:1]
	v_lshlrev_b32_e32 v3, 8, v3
	v_ldexp_f64 v[6:7], v[6:7], v3
	v_rsq_f64_e32 v[8:9], v[6:7]
	v_mov_b32_e32 v3, 0xffffff80
	v_cndmask_b32_e64 v3, 0, v3, s[0:1]
	v_mul_f64 v[10:11], v[6:7], v[8:9]
	v_mul_f64 v[8:9], v[8:9], 0.5
	v_fma_f64 v[12:13], -v[8:9], v[10:11], 0.5
	v_fmac_f64_e32 v[10:11], v[10:11], v[12:13]
	v_fma_f64 v[14:15], -v[10:11], v[10:11], v[6:7]
	v_fmac_f64_e32 v[8:9], v[8:9], v[12:13]
	v_fmac_f64_e32 v[10:11], v[14:15], v[8:9]
	v_fma_f64 v[12:13], -v[10:11], v[10:11], v[6:7]
	v_fmac_f64_e32 v[10:11], v[12:13], v[8:9]
	v_ldexp_f64 v[8:9], v[10:11], v3
	v_mov_b32_e32 v3, 0x260
	v_cmp_class_f64_e64 s[0:1], v[6:7], v3
	v_cndmask_b32_e64 v7, v9, v7, s[0:1]
	v_cndmask_b32_e64 v6, v8, v6, s[0:1]
	v_cmp_eq_f64_e64 s[0:1], 0, v[6:7]
	global_store_dwordx2 v[4:5], v[6:7], off
	s_and_b64 exec, exec, s[0:1]
	s_cbranch_execz .LBB21_44
; %bb.40:
	s_mov_b64 s[0:1], exec
	s_brev_b32 s4, -2
.LBB21_41:                              ; =>This Inner Loop Header: Depth=1
	s_ff1_i32_b64 s5, s[0:1]
	v_readlane_b32 s10, v2, s5
	s_lshl_b64 s[6:7], 1, s5
	s_min_i32 s4, s4, s10
	s_andn2_b64 s[0:1], s[0:1], s[6:7]
	s_cmp_lg_u64 s[0:1], 0
	s_cbranch_scc1 .LBB21_41
; %bb.42:
	v_mbcnt_lo_u32_b32 v2, exec_lo, 0
	v_mbcnt_hi_u32_b32 v2, exec_hi, v2
	v_cmp_eq_u32_e64 s[0:1], 0, v2
	s_and_saveexec_b64 s[6:7], s[0:1]
	s_xor_b64 s[6:7], exec, s[6:7]
	s_cbranch_execz .LBB21_44
; %bb.43:
	v_mov_b32_e32 v2, 0
	v_mov_b32_e32 v3, s4
	global_atomic_smin v2, v3, s[12:13]
.LBB21_44:
	s_or_b64 exec, exec, s[2:3]
	s_and_b64 exec, exec, vcc
	s_cbranch_execz .LBB21_46
; %bb.45:
	v_mov_b32_e32 v2, s9
	v_add_co_u32_e32 v0, vcc, s8, v0
	v_addc_co_u32_e32 v1, vcc, v2, v1, vcc
	v_mov_b32_e32 v2, 1
	s_waitcnt vmcnt(0)
	global_store_dword v[0:1], v2, off
.LBB21_46:
	s_endpgm
	.section	.rodata,"a",@progbits
	.p2align	6, 0x0
	.amdhsa_kernel _ZN9rocsparseL18csric0_hash_kernelILj256ELj64ELj2EdEEviPKiS2_PT2_S2_PiS2_S5_S5_d21rocsparse_index_base_
		.amdhsa_group_segment_fixed_size 4096
		.amdhsa_private_segment_fixed_size 0
		.amdhsa_kernarg_size 84
		.amdhsa_user_sgpr_count 6
		.amdhsa_user_sgpr_private_segment_buffer 1
		.amdhsa_user_sgpr_dispatch_ptr 0
		.amdhsa_user_sgpr_queue_ptr 0
		.amdhsa_user_sgpr_kernarg_segment_ptr 1
		.amdhsa_user_sgpr_dispatch_id 0
		.amdhsa_user_sgpr_flat_scratch_init 0
		.amdhsa_user_sgpr_kernarg_preload_length 0
		.amdhsa_user_sgpr_kernarg_preload_offset 0
		.amdhsa_user_sgpr_private_segment_size 0
		.amdhsa_uses_dynamic_stack 0
		.amdhsa_system_sgpr_private_segment_wavefront_offset 0
		.amdhsa_system_sgpr_workgroup_id_x 1
		.amdhsa_system_sgpr_workgroup_id_y 0
		.amdhsa_system_sgpr_workgroup_id_z 0
		.amdhsa_system_sgpr_workgroup_info 0
		.amdhsa_system_vgpr_workitem_id 0
		.amdhsa_next_free_vgpr 38
		.amdhsa_next_free_sgpr 46
		.amdhsa_accum_offset 40
		.amdhsa_reserve_vcc 1
		.amdhsa_reserve_flat_scratch 0
		.amdhsa_float_round_mode_32 0
		.amdhsa_float_round_mode_16_64 0
		.amdhsa_float_denorm_mode_32 3
		.amdhsa_float_denorm_mode_16_64 3
		.amdhsa_dx10_clamp 1
		.amdhsa_ieee_mode 1
		.amdhsa_fp16_overflow 0
		.amdhsa_tg_split 0
		.amdhsa_exception_fp_ieee_invalid_op 0
		.amdhsa_exception_fp_denorm_src 0
		.amdhsa_exception_fp_ieee_div_zero 0
		.amdhsa_exception_fp_ieee_overflow 0
		.amdhsa_exception_fp_ieee_underflow 0
		.amdhsa_exception_fp_ieee_inexact 0
		.amdhsa_exception_int_div_zero 0
	.end_amdhsa_kernel
	.section	.text._ZN9rocsparseL18csric0_hash_kernelILj256ELj64ELj2EdEEviPKiS2_PT2_S2_PiS2_S5_S5_d21rocsparse_index_base_,"axG",@progbits,_ZN9rocsparseL18csric0_hash_kernelILj256ELj64ELj2EdEEviPKiS2_PT2_S2_PiS2_S5_S5_d21rocsparse_index_base_,comdat
.Lfunc_end21:
	.size	_ZN9rocsparseL18csric0_hash_kernelILj256ELj64ELj2EdEEviPKiS2_PT2_S2_PiS2_S5_S5_d21rocsparse_index_base_, .Lfunc_end21-_ZN9rocsparseL18csric0_hash_kernelILj256ELj64ELj2EdEEviPKiS2_PT2_S2_PiS2_S5_S5_d21rocsparse_index_base_
                                        ; -- End function
	.section	.AMDGPU.csdata,"",@progbits
; Kernel info:
; codeLenInByte = 2084
; NumSgprs: 50
; NumVgprs: 38
; NumAgprs: 0
; TotalNumVgprs: 38
; ScratchSize: 0
; MemoryBound: 0
; FloatMode: 240
; IeeeMode: 1
; LDSByteSize: 4096 bytes/workgroup (compile time only)
; SGPRBlocks: 6
; VGPRBlocks: 4
; NumSGPRsForWavesPerEU: 50
; NumVGPRsForWavesPerEU: 38
; AccumOffset: 40
; Occupancy: 8
; WaveLimiterHint : 1
; COMPUTE_PGM_RSRC2:SCRATCH_EN: 0
; COMPUTE_PGM_RSRC2:USER_SGPR: 6
; COMPUTE_PGM_RSRC2:TRAP_HANDLER: 0
; COMPUTE_PGM_RSRC2:TGID_X_EN: 1
; COMPUTE_PGM_RSRC2:TGID_Y_EN: 0
; COMPUTE_PGM_RSRC2:TGID_Z_EN: 0
; COMPUTE_PGM_RSRC2:TIDIG_COMP_CNT: 0
; COMPUTE_PGM_RSRC3_GFX90A:ACCUM_OFFSET: 9
; COMPUTE_PGM_RSRC3_GFX90A:TG_SPLIT: 0
	.section	.text._ZN9rocsparseL18csric0_hash_kernelILj256ELj64ELj4EdEEviPKiS2_PT2_S2_PiS2_S5_S5_d21rocsparse_index_base_,"axG",@progbits,_ZN9rocsparseL18csric0_hash_kernelILj256ELj64ELj4EdEEviPKiS2_PT2_S2_PiS2_S5_S5_d21rocsparse_index_base_,comdat
	.globl	_ZN9rocsparseL18csric0_hash_kernelILj256ELj64ELj4EdEEviPKiS2_PT2_S2_PiS2_S5_S5_d21rocsparse_index_base_ ; -- Begin function _ZN9rocsparseL18csric0_hash_kernelILj256ELj64ELj4EdEEviPKiS2_PT2_S2_PiS2_S5_S5_d21rocsparse_index_base_
	.p2align	8
	.type	_ZN9rocsparseL18csric0_hash_kernelILj256ELj64ELj4EdEEviPKiS2_PT2_S2_PiS2_S5_S5_d21rocsparse_index_base_,@function
_ZN9rocsparseL18csric0_hash_kernelILj256ELj64ELj4EdEEviPKiS2_PT2_S2_PiS2_S5_S5_d21rocsparse_index_base_: ; @_ZN9rocsparseL18csric0_hash_kernelILj256ELj64ELj4EdEEviPKiS2_PT2_S2_PiS2_S5_S5_d21rocsparse_index_base_
; %bb.0:
	s_load_dword s0, s[4:5], 0x0
	v_lshlrev_b32_e32 v1, 2, v0
	s_lshl_b32 s1, s6, 2
	v_and_b32_e32 v5, 63, v0
	v_and_b32_e32 v6, 0x300, v1
	v_mov_b32_e32 v1, 0x1000
	v_lshrrev_b32_e32 v0, 6, v0
	s_and_b32 s1, s1, 0x3fffffc
	v_lshl_or_b32 v22, v6, 2, v1
	v_or_b32_e32 v0, s1, v0
	v_lshl_or_b32 v1, v5, 2, v22
	v_mov_b32_e32 v2, -1
	s_waitcnt lgkmcnt(0)
	v_cmp_gt_i32_e32 vcc, s0, v0
	ds_write2st64_b32 v1, v2, v2 offset1:1
	ds_write2st64_b32 v1, v2, v2 offset0:2 offset1:3
	s_waitcnt lgkmcnt(0)
	s_and_saveexec_b64 s[0:1], vcc
	s_cbranch_execz .LBB22_46
; %bb.1:
	s_load_dwordx8 s[8:15], s[4:5], 0x28
	v_lshlrev_b32_e32 v0, 2, v0
	s_load_dwordx8 s[16:23], s[4:5], 0x8
	s_load_dword s33, s[4:5], 0x50
	s_waitcnt lgkmcnt(0)
	global_load_dword v2, v0, s[10:11]
	v_mov_b32_e32 v7, s17
	v_mov_b32_e32 v4, s23
	s_waitcnt vmcnt(0)
	v_ashrrev_i32_e32 v3, 31, v2
	v_lshlrev_b64 v[0:1], 2, v[2:3]
	v_add_co_u32_e32 v8, vcc, s16, v0
	v_addc_co_u32_e32 v9, vcc, v7, v1, vcc
	global_load_dwordx2 v[8:9], v[8:9], off
	v_add_co_u32_e32 v10, vcc, s22, v0
	v_addc_co_u32_e32 v11, vcc, v4, v1, vcc
	global_load_dword v4, v[10:11], off
	v_lshlrev_b32_e32 v3, 2, v6
	s_waitcnt vmcnt(1)
	v_subrev_u32_e32 v6, s33, v8
	v_subrev_u32_e32 v7, s33, v9
	v_add_u32_e32 v8, v6, v5
	v_cmp_lt_i32_e32 vcc, v8, v7
	s_and_saveexec_b64 s[0:1], vcc
	s_cbranch_execz .LBB22_11
; %bb.2:
	s_mov_b64 s[2:3], 0
	v_mov_b32_e32 v10, s19
	s_movk_i32 s34, 0x67
	v_mov_b32_e32 v11, -1
	s_branch .LBB22_4
.LBB22_3:                               ;   in Loop: Header=BB22_4 Depth=1
	s_or_b64 exec, exec, s[6:7]
	v_add_u32_e32 v8, 64, v8
	v_cmp_ge_i32_e32 vcc, v8, v7
	s_or_b64 s[2:3], vcc, s[2:3]
	s_andn2_b64 exec, exec, s[2:3]
	s_cbranch_execz .LBB22_11
.LBB22_4:                               ; =>This Loop Header: Depth=1
                                        ;     Child Loop BB22_7 Depth 2
	v_ashrrev_i32_e32 v9, 31, v8
	v_lshlrev_b64 v[12:13], 2, v[8:9]
	v_add_co_u32_e32 v12, vcc, s18, v12
	v_addc_co_u32_e32 v13, vcc, v10, v13, vcc
	global_load_dword v9, v[12:13], off
	s_waitcnt vmcnt(0)
	v_mul_lo_u32 v12, v9, s34
	v_and_b32_e32 v12, 0xff, v12
	v_lshl_add_u32 v13, v12, 2, v22
	ds_read_b32 v14, v13
	s_waitcnt lgkmcnt(0)
	v_cmp_ne_u32_e32 vcc, v14, v9
	s_and_saveexec_b64 s[6:7], vcc
	s_cbranch_execz .LBB22_3
; %bb.5:                                ;   in Loop: Header=BB22_4 Depth=1
	s_mov_b64 s[10:11], 0
                                        ; implicit-def: $sgpr24_sgpr25
                                        ; implicit-def: $sgpr28_sgpr29
                                        ; implicit-def: $sgpr26_sgpr27
	s_branch .LBB22_7
.LBB22_6:                               ;   in Loop: Header=BB22_7 Depth=2
	s_or_b64 exec, exec, s[30:31]
	s_and_b64 s[30:31], exec, s[28:29]
	s_or_b64 s[10:11], s[30:31], s[10:11]
	s_andn2_b64 s[24:25], s[24:25], exec
	s_and_b64 s[30:31], s[26:27], exec
	s_or_b64 s[24:25], s[24:25], s[30:31]
	s_andn2_b64 exec, exec, s[10:11]
	s_cbranch_execz .LBB22_9
.LBB22_7:                               ;   Parent Loop BB22_4 Depth=1
                                        ; =>  This Inner Loop Header: Depth=2
	ds_cmpst_rtn_b32 v13, v13, v11, v9
	v_mov_b32_e32 v14, v12
	s_or_b64 s[26:27], s[26:27], exec
	s_or_b64 s[28:29], s[28:29], exec
                                        ; implicit-def: $vgpr12
	s_waitcnt lgkmcnt(0)
	v_cmp_ne_u32_e32 vcc, -1, v13
                                        ; implicit-def: $vgpr13
	s_and_saveexec_b64 s[30:31], vcc
	s_cbranch_execz .LBB22_6
; %bb.8:                                ;   in Loop: Header=BB22_7 Depth=2
	v_add_u32_e32 v12, 1, v14
	v_and_b32_e32 v12, 0xff, v12
	v_lshl_add_u32 v13, v12, 2, v22
	ds_read_b32 v15, v13
	s_andn2_b64 s[28:29], s[28:29], exec
	s_andn2_b64 s[26:27], s[26:27], exec
	s_waitcnt lgkmcnt(0)
	v_cmp_eq_u32_e32 vcc, v15, v9
	s_and_b64 s[36:37], vcc, exec
	s_or_b64 s[28:29], s[28:29], s[36:37]
	s_branch .LBB22_6
.LBB22_9:                               ;   in Loop: Header=BB22_4 Depth=1
	s_or_b64 exec, exec, s[10:11]
	s_and_saveexec_b64 s[10:11], s[24:25]
	s_xor_b64 s[10:11], exec, s[10:11]
	s_cbranch_execz .LBB22_3
; %bb.10:                               ;   in Loop: Header=BB22_4 Depth=1
	v_lshl_add_u32 v9, v14, 2, v3
	ds_write_b32 v9, v8
	s_branch .LBB22_3
.LBB22_11:
	s_or_b64 exec, exec, s[0:1]
	s_waitcnt vmcnt(0)
	v_cmp_lt_i32_e32 vcc, v6, v4
	v_pk_mov_b32 v[8:9], 0, 0
	s_waitcnt lgkmcnt(0)
	s_and_saveexec_b64 s[6:7], vcc
	s_cbranch_execz .LBB22_33
; %bb.12:
	v_add_u32_e32 v23, -1, v4
	v_subrev_u32_e32 v24, s33, v5
	v_cmp_eq_u32_e64 s[0:1], 63, v5
	s_mov_b64 s[10:11], 0
	v_pk_mov_b32 v[8:9], 0, 0
	v_mov_b32_e32 v25, s19
	v_mov_b32_e32 v26, s21
	v_mov_b32_e32 v27, s17
	v_mov_b32_e32 v28, s23
	v_mov_b32_e32 v29, s9
	s_movk_i32 s17, 0x67
	s_branch .LBB22_15
.LBB22_13:                              ;   in Loop: Header=BB22_15 Depth=1
	s_or_b64 exec, exec, s[26:27]
.LBB22_14:                              ;   in Loop: Header=BB22_15 Depth=1
	s_or_b64 exec, exec, s[24:25]
	v_add_u32_e32 v6, 1, v6
	v_cmp_ge_i32_e32 vcc, v6, v4
	s_xor_b64 s[2:3], s[2:3], -1
	s_or_b64 s[2:3], s[2:3], vcc
	s_and_b64 s[2:3], exec, s[2:3]
	s_or_b64 s[10:11], s[2:3], s[10:11]
	s_andn2_b64 exec, exec, s[10:11]
	s_cbranch_execz .LBB22_32
.LBB22_15:                              ; =>This Loop Header: Depth=1
                                        ;     Child Loop BB22_16 Depth 2
                                        ;     Child Loop BB22_22 Depth 2
                                        ;       Child Loop BB22_25 Depth 3
	v_ashrrev_i32_e32 v7, 31, v6
	v_lshlrev_b64 v[10:11], 2, v[6:7]
	v_add_co_u32_e32 v10, vcc, s18, v10
	v_addc_co_u32_e32 v11, vcc, v25, v11, vcc
	global_load_dword v14, v[10:11], off
	v_lshlrev_b64 v[10:11], 3, v[6:7]
	v_add_co_u32_e32 v10, vcc, s20, v10
	v_addc_co_u32_e32 v11, vcc, v26, v11, vcc
	global_load_dwordx2 v[12:13], v[10:11], off
	s_mov_b64 s[2:3], 0
	s_waitcnt vmcnt(1)
	v_subrev_u32_e32 v14, s33, v14
	v_ashrrev_i32_e32 v15, 31, v14
	v_lshlrev_b64 v[14:15], 2, v[14:15]
	v_add_co_u32_e32 v18, vcc, s16, v14
	v_addc_co_u32_e32 v19, vcc, v27, v15, vcc
	v_add_co_u32_e32 v20, vcc, s22, v14
	v_addc_co_u32_e32 v21, vcc, v28, v15, vcc
	global_load_dword v7, v[18:19], off
	global_load_dword v16, v[20:21], off
	v_add_co_u32_e32 v14, vcc, s8, v14
	v_addc_co_u32_e32 v15, vcc, v29, v15, vcc
.LBB22_16:                              ;   Parent Loop BB22_15 Depth=1
                                        ; =>  This Inner Loop Header: Depth=2
	global_load_dword v17, v[14:15], off glc
	s_waitcnt vmcnt(0)
	v_cmp_ne_u32_e32 vcc, 0, v17
	s_or_b64 s[2:3], vcc, s[2:3]
	s_andn2_b64 exec, exec, s[2:3]
	s_cbranch_execnz .LBB22_16
; %bb.17:                               ;   in Loop: Header=BB22_15 Depth=1
	s_or_b64 exec, exec, s[2:3]
	v_cmp_eq_u32_e32 vcc, -1, v16
	v_cndmask_b32_e32 v16, v16, v23, vcc
	v_ashrrev_i32_e32 v17, 31, v16
	v_lshlrev_b64 v[14:15], 3, v[16:17]
	v_add_co_u32_e32 v14, vcc, s20, v14
	v_addc_co_u32_e32 v15, vcc, v26, v15, vcc
	buffer_wbinvl1_vol
	global_load_dwordx2 v[14:15], v[14:15], off
	s_waitcnt vmcnt(0)
	v_cmp_neq_f64_e64 s[2:3], 0, v[14:15]
	s_and_saveexec_b64 s[24:25], s[2:3]
	s_cbranch_execz .LBB22_14
; %bb.18:                               ;   in Loop: Header=BB22_15 Depth=1
	v_add_u32_e32 v20, v24, v7
	v_cmp_lt_i32_e32 vcc, v20, v16
	v_pk_mov_b32 v[18:19], 0, 0
	s_and_saveexec_b64 s[26:27], vcc
	s_cbranch_execz .LBB22_30
; %bb.19:                               ;   in Loop: Header=BB22_15 Depth=1
	s_mov_b64 s[28:29], 0
	v_pk_mov_b32 v[18:19], 0, 0
	s_branch .LBB22_22
.LBB22_20:                              ;   in Loop: Header=BB22_22 Depth=2
	s_or_b64 exec, exec, s[34:35]
.LBB22_21:                              ;   in Loop: Header=BB22_22 Depth=2
	s_or_b64 exec, exec, s[30:31]
	v_add_u32_e32 v20, 64, v20
	v_cmp_ge_i32_e32 vcc, v20, v16
	s_or_b64 s[28:29], vcc, s[28:29]
	s_andn2_b64 exec, exec, s[28:29]
	s_cbranch_execz .LBB22_29
.LBB22_22:                              ;   Parent Loop BB22_15 Depth=1
                                        ; =>  This Loop Header: Depth=2
                                        ;       Child Loop BB22_25 Depth 3
	v_ashrrev_i32_e32 v21, 31, v20
	v_lshlrev_b64 v[30:31], 2, v[20:21]
	v_add_co_u32_e32 v30, vcc, s18, v30
	v_addc_co_u32_e32 v31, vcc, v25, v31, vcc
	global_load_dword v7, v[30:31], off
	s_waitcnt vmcnt(0)
	v_mul_lo_u32 v17, v7, s17
	v_and_b32_e32 v31, 0xff, v17
	v_lshl_add_u32 v17, v31, 2, v22
	ds_read_b32 v30, v17
	s_waitcnt lgkmcnt(0)
	v_cmp_ne_u32_e32 vcc, -1, v30
	s_and_saveexec_b64 s[30:31], vcc
	s_cbranch_execz .LBB22_21
; %bb.23:                               ;   in Loop: Header=BB22_22 Depth=2
	s_mov_b64 s[34:35], 0
                                        ; implicit-def: $sgpr36_sgpr37
                                        ; implicit-def: $sgpr40_sgpr41
                                        ; implicit-def: $sgpr38_sgpr39
	s_branch .LBB22_25
.LBB22_24:                              ;   in Loop: Header=BB22_25 Depth=3
	s_or_b64 exec, exec, s[42:43]
	s_and_b64 s[42:43], exec, s[40:41]
	s_or_b64 s[34:35], s[42:43], s[34:35]
	s_andn2_b64 s[36:37], s[36:37], exec
	s_and_b64 s[42:43], s[38:39], exec
	s_or_b64 s[36:37], s[36:37], s[42:43]
	s_andn2_b64 exec, exec, s[34:35]
	s_cbranch_execz .LBB22_27
.LBB22_25:                              ;   Parent Loop BB22_15 Depth=1
                                        ;     Parent Loop BB22_22 Depth=2
                                        ; =>    This Inner Loop Header: Depth=3
	v_mov_b32_e32 v17, v31
	v_cmp_ne_u32_e32 vcc, v30, v7
	s_or_b64 s[38:39], s[38:39], exec
	s_or_b64 s[40:41], s[40:41], exec
                                        ; implicit-def: $vgpr31
                                        ; implicit-def: $vgpr30
	s_and_saveexec_b64 s[42:43], vcc
	s_cbranch_execz .LBB22_24
; %bb.26:                               ;   in Loop: Header=BB22_25 Depth=3
	v_add_u32_e32 v30, 1, v17
	v_and_b32_e32 v31, 0xff, v30
	v_lshl_add_u32 v30, v31, 2, v22
	ds_read_b32 v30, v30
	s_andn2_b64 s[40:41], s[40:41], exec
	s_andn2_b64 s[38:39], s[38:39], exec
	s_waitcnt lgkmcnt(0)
	v_cmp_eq_u32_e32 vcc, -1, v30
	s_and_b64 s[44:45], vcc, exec
	s_or_b64 s[40:41], s[40:41], s[44:45]
	s_branch .LBB22_24
.LBB22_27:                              ;   in Loop: Header=BB22_22 Depth=2
	s_or_b64 exec, exec, s[34:35]
	s_and_saveexec_b64 s[34:35], s[36:37]
	s_xor_b64 s[34:35], exec, s[34:35]
	s_cbranch_execz .LBB22_20
; %bb.28:                               ;   in Loop: Header=BB22_22 Depth=2
	v_lshl_add_u32 v7, v17, 2, v3
	ds_read_b32 v30, v7
	v_lshlrev_b64 v[32:33], 3, v[20:21]
	v_mov_b32_e32 v7, s21
	v_add_co_u32_e32 v32, vcc, s20, v32
	s_waitcnt lgkmcnt(0)
	v_ashrrev_i32_e32 v31, 31, v30
	v_addc_co_u32_e32 v33, vcc, v7, v33, vcc
	v_lshlrev_b64 v[30:31], 3, v[30:31]
	v_add_co_u32_e32 v30, vcc, s20, v30
	v_addc_co_u32_e32 v31, vcc, v7, v31, vcc
	global_load_dwordx2 v[34:35], v[32:33], off
	global_load_dwordx2 v[36:37], v[30:31], off
	s_waitcnt vmcnt(0)
	v_fmac_f64_e32 v[18:19], v[34:35], v[36:37]
	s_branch .LBB22_20
.LBB22_29:                              ;   in Loop: Header=BB22_15 Depth=1
	s_or_b64 exec, exec, s[28:29]
.LBB22_30:                              ;   in Loop: Header=BB22_15 Depth=1
	s_or_b64 exec, exec, s[26:27]
	v_mov_b32_dpp v16, v18 row_shr:1 row_mask:0xf bank_mask:0xf
	v_mov_b32_dpp v17, v19 row_shr:1 row_mask:0xf bank_mask:0xf
	v_add_f64 v[16:17], v[18:19], v[16:17]
	s_nop 1
	v_mov_b32_dpp v18, v16 row_shr:2 row_mask:0xf bank_mask:0xf
	v_mov_b32_dpp v19, v17 row_shr:2 row_mask:0xf bank_mask:0xf
	v_add_f64 v[16:17], v[16:17], v[18:19]
	s_nop 1
	v_mov_b32_dpp v18, v16 row_shr:4 row_mask:0xf bank_mask:0xe
	v_mov_b32_dpp v19, v17 row_shr:4 row_mask:0xf bank_mask:0xe
	v_add_f64 v[16:17], v[16:17], v[18:19]
	s_nop 1
	v_mov_b32_dpp v18, v16 row_shr:8 row_mask:0xf bank_mask:0xc
	v_mov_b32_dpp v19, v17 row_shr:8 row_mask:0xf bank_mask:0xc
	v_add_f64 v[16:17], v[16:17], v[18:19]
	s_nop 1
	v_mov_b32_dpp v18, v16 row_bcast:15 row_mask:0xa bank_mask:0xf
	v_mov_b32_dpp v19, v17 row_bcast:15 row_mask:0xa bank_mask:0xf
	v_add_f64 v[16:17], v[16:17], v[18:19]
	s_nop 1
	v_mov_b32_dpp v18, v16 row_bcast:31 row_mask:0xc bank_mask:0xf
	v_mov_b32_dpp v19, v17 row_bcast:31 row_mask:0xc bank_mask:0xf
	s_and_saveexec_b64 s[26:27], s[0:1]
	s_cbranch_execz .LBB22_13
; %bb.31:                               ;   in Loop: Header=BB22_15 Depth=1
	v_div_scale_f64 v[20:21], s[28:29], v[14:15], v[14:15], 1.0
	v_rcp_f64_e32 v[30:31], v[20:21]
	v_div_scale_f64 v[32:33], vcc, 1.0, v[14:15], 1.0
	v_add_f64 v[16:17], v[16:17], v[18:19]
	v_fma_f64 v[34:35], -v[20:21], v[30:31], 1.0
	v_fmac_f64_e32 v[30:31], v[30:31], v[34:35]
	v_fma_f64 v[34:35], -v[20:21], v[30:31], 1.0
	v_fmac_f64_e32 v[30:31], v[30:31], v[34:35]
	v_mul_f64 v[34:35], v[32:33], v[30:31]
	v_fma_f64 v[20:21], -v[20:21], v[34:35], v[32:33]
	v_div_fmas_f64 v[20:21], v[20:21], v[30:31], v[34:35]
	v_div_fixup_f64 v[14:15], v[20:21], v[14:15], 1.0
	v_add_f64 v[12:13], v[12:13], -v[16:17]
	v_mul_f64 v[12:13], v[14:15], v[12:13]
	v_fmac_f64_e32 v[8:9], v[12:13], v[12:13]
	global_store_dwordx2 v[10:11], v[12:13], off
	s_branch .LBB22_13
.LBB22_32:
	s_or_b64 exec, exec, s[10:11]
.LBB22_33:
	s_or_b64 exec, exec, s[6:7]
	v_cmp_eq_u32_e32 vcc, 63, v5
	v_cmp_lt_i32_e64 s[0:1], -1, v4
	s_and_b64 s[0:1], vcc, s[0:1]
	s_and_saveexec_b64 s[2:3], s[0:1]
	s_cbranch_execz .LBB22_44
; %bb.34:
	v_mov_b32_e32 v5, 0
	v_lshlrev_b64 v[4:5], 3, v[4:5]
	v_mov_b32_e32 v3, s21
	v_add_co_u32_e64 v4, s[0:1], s20, v4
	v_addc_co_u32_e64 v5, s[0:1], v3, v5, s[0:1]
	global_load_dwordx2 v[6:7], v[4:5], off
	s_load_dwordx2 s[0:1], s[4:5], 0x48
	v_add_u32_e32 v2, s33, v2
	s_waitcnt lgkmcnt(0)
	v_mul_f64 v[10:11], s[0:1], s[0:1]
	s_waitcnt vmcnt(0)
	v_add_f64 v[6:7], v[6:7], -v[8:9]
	v_cmp_le_f64_e64 s[0:1], v[6:7], v[10:11]
	s_and_saveexec_b64 s[4:5], s[0:1]
	s_cbranch_execz .LBB22_39
; %bb.35:
	s_mov_b64 s[0:1], exec
	s_brev_b32 s6, -2
.LBB22_36:                              ; =>This Inner Loop Header: Depth=1
	s_ff1_i32_b64 s7, s[0:1]
	v_readlane_b32 s16, v2, s7
	s_lshl_b64 s[10:11], 1, s7
	s_min_i32 s6, s6, s16
	s_andn2_b64 s[0:1], s[0:1], s[10:11]
	s_cmp_lg_u64 s[0:1], 0
	s_cbranch_scc1 .LBB22_36
; %bb.37:
	v_mbcnt_lo_u32_b32 v3, exec_lo, 0
	v_mbcnt_hi_u32_b32 v3, exec_hi, v3
	v_cmp_eq_u32_e64 s[0:1], 0, v3
	s_and_saveexec_b64 s[10:11], s[0:1]
	s_xor_b64 s[10:11], exec, s[10:11]
	s_cbranch_execz .LBB22_39
; %bb.38:
	v_mov_b32_e32 v3, 0
	v_mov_b32_e32 v8, s6
	global_atomic_smin v3, v8, s[14:15]
.LBB22_39:
	s_or_b64 exec, exec, s[4:5]
	v_xor_b32_e32 v3, 0x80000000, v7
	v_cmp_gt_f64_e64 s[0:1], 0, v[6:7]
	v_cndmask_b32_e64 v7, v7, v3, s[0:1]
	v_cndmask_b32_e64 v6, v6, v6, s[0:1]
	s_mov_b32 s0, 0
	s_brev_b32 s1, 8
	v_cmp_gt_f64_e64 s[0:1], s[0:1], v[6:7]
	v_cndmask_b32_e64 v3, 0, 1, s[0:1]
	v_lshlrev_b32_e32 v3, 8, v3
	v_ldexp_f64 v[6:7], v[6:7], v3
	v_rsq_f64_e32 v[8:9], v[6:7]
	v_mov_b32_e32 v3, 0xffffff80
	v_cndmask_b32_e64 v3, 0, v3, s[0:1]
	v_mul_f64 v[10:11], v[6:7], v[8:9]
	v_mul_f64 v[8:9], v[8:9], 0.5
	v_fma_f64 v[12:13], -v[8:9], v[10:11], 0.5
	v_fmac_f64_e32 v[10:11], v[10:11], v[12:13]
	v_fma_f64 v[14:15], -v[10:11], v[10:11], v[6:7]
	v_fmac_f64_e32 v[8:9], v[8:9], v[12:13]
	v_fmac_f64_e32 v[10:11], v[14:15], v[8:9]
	v_fma_f64 v[12:13], -v[10:11], v[10:11], v[6:7]
	v_fmac_f64_e32 v[10:11], v[12:13], v[8:9]
	v_ldexp_f64 v[8:9], v[10:11], v3
	v_mov_b32_e32 v3, 0x260
	v_cmp_class_f64_e64 s[0:1], v[6:7], v3
	v_cndmask_b32_e64 v7, v9, v7, s[0:1]
	v_cndmask_b32_e64 v6, v8, v6, s[0:1]
	v_cmp_eq_f64_e64 s[0:1], 0, v[6:7]
	global_store_dwordx2 v[4:5], v[6:7], off
	s_and_b64 exec, exec, s[0:1]
	s_cbranch_execz .LBB22_44
; %bb.40:
	s_mov_b64 s[0:1], exec
	s_brev_b32 s4, -2
.LBB22_41:                              ; =>This Inner Loop Header: Depth=1
	s_ff1_i32_b64 s5, s[0:1]
	v_readlane_b32 s10, v2, s5
	s_lshl_b64 s[6:7], 1, s5
	s_min_i32 s4, s4, s10
	s_andn2_b64 s[0:1], s[0:1], s[6:7]
	s_cmp_lg_u64 s[0:1], 0
	s_cbranch_scc1 .LBB22_41
; %bb.42:
	v_mbcnt_lo_u32_b32 v2, exec_lo, 0
	v_mbcnt_hi_u32_b32 v2, exec_hi, v2
	v_cmp_eq_u32_e64 s[0:1], 0, v2
	s_and_saveexec_b64 s[6:7], s[0:1]
	s_xor_b64 s[6:7], exec, s[6:7]
	s_cbranch_execz .LBB22_44
; %bb.43:
	v_mov_b32_e32 v2, 0
	v_mov_b32_e32 v3, s4
	global_atomic_smin v2, v3, s[12:13]
.LBB22_44:
	s_or_b64 exec, exec, s[2:3]
	s_and_b64 exec, exec, vcc
	s_cbranch_execz .LBB22_46
; %bb.45:
	v_mov_b32_e32 v2, s9
	v_add_co_u32_e32 v0, vcc, s8, v0
	v_addc_co_u32_e32 v1, vcc, v2, v1, vcc
	v_mov_b32_e32 v2, 1
	s_waitcnt vmcnt(0)
	global_store_dword v[0:1], v2, off
.LBB22_46:
	s_endpgm
	.section	.rodata,"a",@progbits
	.p2align	6, 0x0
	.amdhsa_kernel _ZN9rocsparseL18csric0_hash_kernelILj256ELj64ELj4EdEEviPKiS2_PT2_S2_PiS2_S5_S5_d21rocsparse_index_base_
		.amdhsa_group_segment_fixed_size 8192
		.amdhsa_private_segment_fixed_size 0
		.amdhsa_kernarg_size 84
		.amdhsa_user_sgpr_count 6
		.amdhsa_user_sgpr_private_segment_buffer 1
		.amdhsa_user_sgpr_dispatch_ptr 0
		.amdhsa_user_sgpr_queue_ptr 0
		.amdhsa_user_sgpr_kernarg_segment_ptr 1
		.amdhsa_user_sgpr_dispatch_id 0
		.amdhsa_user_sgpr_flat_scratch_init 0
		.amdhsa_user_sgpr_kernarg_preload_length 0
		.amdhsa_user_sgpr_kernarg_preload_offset 0
		.amdhsa_user_sgpr_private_segment_size 0
		.amdhsa_uses_dynamic_stack 0
		.amdhsa_system_sgpr_private_segment_wavefront_offset 0
		.amdhsa_system_sgpr_workgroup_id_x 1
		.amdhsa_system_sgpr_workgroup_id_y 0
		.amdhsa_system_sgpr_workgroup_id_z 0
		.amdhsa_system_sgpr_workgroup_info 0
		.amdhsa_system_vgpr_workitem_id 0
		.amdhsa_next_free_vgpr 38
		.amdhsa_next_free_sgpr 46
		.amdhsa_accum_offset 40
		.amdhsa_reserve_vcc 1
		.amdhsa_reserve_flat_scratch 0
		.amdhsa_float_round_mode_32 0
		.amdhsa_float_round_mode_16_64 0
		.amdhsa_float_denorm_mode_32 3
		.amdhsa_float_denorm_mode_16_64 3
		.amdhsa_dx10_clamp 1
		.amdhsa_ieee_mode 1
		.amdhsa_fp16_overflow 0
		.amdhsa_tg_split 0
		.amdhsa_exception_fp_ieee_invalid_op 0
		.amdhsa_exception_fp_denorm_src 0
		.amdhsa_exception_fp_ieee_div_zero 0
		.amdhsa_exception_fp_ieee_overflow 0
		.amdhsa_exception_fp_ieee_underflow 0
		.amdhsa_exception_fp_ieee_inexact 0
		.amdhsa_exception_int_div_zero 0
	.end_amdhsa_kernel
	.section	.text._ZN9rocsparseL18csric0_hash_kernelILj256ELj64ELj4EdEEviPKiS2_PT2_S2_PiS2_S5_S5_d21rocsparse_index_base_,"axG",@progbits,_ZN9rocsparseL18csric0_hash_kernelILj256ELj64ELj4EdEEviPKiS2_PT2_S2_PiS2_S5_S5_d21rocsparse_index_base_,comdat
.Lfunc_end22:
	.size	_ZN9rocsparseL18csric0_hash_kernelILj256ELj64ELj4EdEEviPKiS2_PT2_S2_PiS2_S5_S5_d21rocsparse_index_base_, .Lfunc_end22-_ZN9rocsparseL18csric0_hash_kernelILj256ELj64ELj4EdEEviPKiS2_PT2_S2_PiS2_S5_S5_d21rocsparse_index_base_
                                        ; -- End function
	.section	.AMDGPU.csdata,"",@progbits
; Kernel info:
; codeLenInByte = 2092
; NumSgprs: 50
; NumVgprs: 38
; NumAgprs: 0
; TotalNumVgprs: 38
; ScratchSize: 0
; MemoryBound: 0
; FloatMode: 240
; IeeeMode: 1
; LDSByteSize: 8192 bytes/workgroup (compile time only)
; SGPRBlocks: 6
; VGPRBlocks: 4
; NumSGPRsForWavesPerEU: 50
; NumVGPRsForWavesPerEU: 38
; AccumOffset: 40
; Occupancy: 8
; WaveLimiterHint : 1
; COMPUTE_PGM_RSRC2:SCRATCH_EN: 0
; COMPUTE_PGM_RSRC2:USER_SGPR: 6
; COMPUTE_PGM_RSRC2:TRAP_HANDLER: 0
; COMPUTE_PGM_RSRC2:TGID_X_EN: 1
; COMPUTE_PGM_RSRC2:TGID_Y_EN: 0
; COMPUTE_PGM_RSRC2:TGID_Z_EN: 0
; COMPUTE_PGM_RSRC2:TIDIG_COMP_CNT: 0
; COMPUTE_PGM_RSRC3_GFX90A:ACCUM_OFFSET: 9
; COMPUTE_PGM_RSRC3_GFX90A:TG_SPLIT: 0
	.section	.text._ZN9rocsparseL18csric0_hash_kernelILj256ELj64ELj8EdEEviPKiS2_PT2_S2_PiS2_S5_S5_d21rocsparse_index_base_,"axG",@progbits,_ZN9rocsparseL18csric0_hash_kernelILj256ELj64ELj8EdEEviPKiS2_PT2_S2_PiS2_S5_S5_d21rocsparse_index_base_,comdat
	.globl	_ZN9rocsparseL18csric0_hash_kernelILj256ELj64ELj8EdEEviPKiS2_PT2_S2_PiS2_S5_S5_d21rocsparse_index_base_ ; -- Begin function _ZN9rocsparseL18csric0_hash_kernelILj256ELj64ELj8EdEEviPKiS2_PT2_S2_PiS2_S5_S5_d21rocsparse_index_base_
	.p2align	8
	.type	_ZN9rocsparseL18csric0_hash_kernelILj256ELj64ELj8EdEEviPKiS2_PT2_S2_PiS2_S5_S5_d21rocsparse_index_base_,@function
_ZN9rocsparseL18csric0_hash_kernelILj256ELj64ELj8EdEEviPKiS2_PT2_S2_PiS2_S5_S5_d21rocsparse_index_base_: ; @_ZN9rocsparseL18csric0_hash_kernelILj256ELj64ELj8EdEEviPKiS2_PT2_S2_PiS2_S5_S5_d21rocsparse_index_base_
; %bb.0:
	s_load_dword s0, s[4:5], 0x0
	v_lshlrev_b32_e32 v1, 3, v0
	s_lshl_b32 s1, s6, 2
	v_and_b32_e32 v5, 63, v0
	v_and_b32_e32 v6, 0x600, v1
	v_mov_b32_e32 v1, 0x2000
	v_lshrrev_b32_e32 v0, 6, v0
	s_and_b32 s1, s1, 0x3fffffc
	v_lshl_or_b32 v22, v6, 2, v1
	v_or_b32_e32 v0, s1, v0
	v_lshl_or_b32 v1, v5, 2, v22
	v_mov_b32_e32 v2, -1
	s_waitcnt lgkmcnt(0)
	v_cmp_gt_i32_e32 vcc, s0, v0
	ds_write2st64_b32 v1, v2, v2 offset1:1
	ds_write2st64_b32 v1, v2, v2 offset0:2 offset1:3
	ds_write2st64_b32 v1, v2, v2 offset0:4 offset1:5
	;; [unrolled: 1-line block ×3, first 2 shown]
	s_waitcnt lgkmcnt(0)
	s_and_saveexec_b64 s[0:1], vcc
	s_cbranch_execz .LBB23_46
; %bb.1:
	s_load_dwordx8 s[8:15], s[4:5], 0x28
	v_lshlrev_b32_e32 v0, 2, v0
	s_load_dwordx8 s[16:23], s[4:5], 0x8
	s_load_dword s33, s[4:5], 0x50
	s_waitcnt lgkmcnt(0)
	global_load_dword v2, v0, s[10:11]
	v_mov_b32_e32 v7, s17
	v_mov_b32_e32 v4, s23
	s_waitcnt vmcnt(0)
	v_ashrrev_i32_e32 v3, 31, v2
	v_lshlrev_b64 v[0:1], 2, v[2:3]
	v_add_co_u32_e32 v8, vcc, s16, v0
	v_addc_co_u32_e32 v9, vcc, v7, v1, vcc
	global_load_dwordx2 v[8:9], v[8:9], off
	v_add_co_u32_e32 v10, vcc, s22, v0
	v_addc_co_u32_e32 v11, vcc, v4, v1, vcc
	global_load_dword v4, v[10:11], off
	v_lshlrev_b32_e32 v3, 2, v6
	s_waitcnt vmcnt(1)
	v_subrev_u32_e32 v6, s33, v8
	v_subrev_u32_e32 v7, s33, v9
	v_add_u32_e32 v8, v6, v5
	v_cmp_lt_i32_e32 vcc, v8, v7
	s_and_saveexec_b64 s[0:1], vcc
	s_cbranch_execz .LBB23_11
; %bb.2:
	s_mov_b64 s[2:3], 0
	v_mov_b32_e32 v10, s19
	s_movk_i32 s34, 0x67
	v_mov_b32_e32 v11, -1
	s_branch .LBB23_4
.LBB23_3:                               ;   in Loop: Header=BB23_4 Depth=1
	s_or_b64 exec, exec, s[6:7]
	v_add_u32_e32 v8, 64, v8
	v_cmp_ge_i32_e32 vcc, v8, v7
	s_or_b64 s[2:3], vcc, s[2:3]
	s_andn2_b64 exec, exec, s[2:3]
	s_cbranch_execz .LBB23_11
.LBB23_4:                               ; =>This Loop Header: Depth=1
                                        ;     Child Loop BB23_7 Depth 2
	v_ashrrev_i32_e32 v9, 31, v8
	v_lshlrev_b64 v[12:13], 2, v[8:9]
	v_add_co_u32_e32 v12, vcc, s18, v12
	v_addc_co_u32_e32 v13, vcc, v10, v13, vcc
	global_load_dword v9, v[12:13], off
	s_waitcnt vmcnt(0)
	v_mul_lo_u32 v12, v9, s34
	v_and_b32_e32 v12, 0x1ff, v12
	v_lshl_add_u32 v13, v12, 2, v22
	ds_read_b32 v14, v13
	s_waitcnt lgkmcnt(0)
	v_cmp_ne_u32_e32 vcc, v14, v9
	s_and_saveexec_b64 s[6:7], vcc
	s_cbranch_execz .LBB23_3
; %bb.5:                                ;   in Loop: Header=BB23_4 Depth=1
	s_mov_b64 s[10:11], 0
                                        ; implicit-def: $sgpr24_sgpr25
                                        ; implicit-def: $sgpr28_sgpr29
                                        ; implicit-def: $sgpr26_sgpr27
	s_branch .LBB23_7
.LBB23_6:                               ;   in Loop: Header=BB23_7 Depth=2
	s_or_b64 exec, exec, s[30:31]
	s_and_b64 s[30:31], exec, s[28:29]
	s_or_b64 s[10:11], s[30:31], s[10:11]
	s_andn2_b64 s[24:25], s[24:25], exec
	s_and_b64 s[30:31], s[26:27], exec
	s_or_b64 s[24:25], s[24:25], s[30:31]
	s_andn2_b64 exec, exec, s[10:11]
	s_cbranch_execz .LBB23_9
.LBB23_7:                               ;   Parent Loop BB23_4 Depth=1
                                        ; =>  This Inner Loop Header: Depth=2
	ds_cmpst_rtn_b32 v13, v13, v11, v9
	v_mov_b32_e32 v14, v12
	s_or_b64 s[26:27], s[26:27], exec
	s_or_b64 s[28:29], s[28:29], exec
                                        ; implicit-def: $vgpr12
	s_waitcnt lgkmcnt(0)
	v_cmp_ne_u32_e32 vcc, -1, v13
                                        ; implicit-def: $vgpr13
	s_and_saveexec_b64 s[30:31], vcc
	s_cbranch_execz .LBB23_6
; %bb.8:                                ;   in Loop: Header=BB23_7 Depth=2
	v_add_u32_e32 v12, 1, v14
	v_and_b32_e32 v12, 0x1ff, v12
	v_lshl_add_u32 v13, v12, 2, v22
	ds_read_b32 v15, v13
	s_andn2_b64 s[28:29], s[28:29], exec
	s_andn2_b64 s[26:27], s[26:27], exec
	s_waitcnt lgkmcnt(0)
	v_cmp_eq_u32_e32 vcc, v15, v9
	s_and_b64 s[36:37], vcc, exec
	s_or_b64 s[28:29], s[28:29], s[36:37]
	s_branch .LBB23_6
.LBB23_9:                               ;   in Loop: Header=BB23_4 Depth=1
	s_or_b64 exec, exec, s[10:11]
	s_and_saveexec_b64 s[10:11], s[24:25]
	s_xor_b64 s[10:11], exec, s[10:11]
	s_cbranch_execz .LBB23_3
; %bb.10:                               ;   in Loop: Header=BB23_4 Depth=1
	v_lshl_add_u32 v9, v14, 2, v3
	ds_write_b32 v9, v8
	s_branch .LBB23_3
.LBB23_11:
	s_or_b64 exec, exec, s[0:1]
	s_waitcnt vmcnt(0)
	v_cmp_lt_i32_e32 vcc, v6, v4
	v_pk_mov_b32 v[8:9], 0, 0
	s_waitcnt lgkmcnt(0)
	s_and_saveexec_b64 s[6:7], vcc
	s_cbranch_execz .LBB23_33
; %bb.12:
	v_add_u32_e32 v23, -1, v4
	v_subrev_u32_e32 v24, s33, v5
	v_cmp_eq_u32_e64 s[0:1], 63, v5
	s_mov_b64 s[10:11], 0
	v_pk_mov_b32 v[8:9], 0, 0
	v_mov_b32_e32 v25, s19
	v_mov_b32_e32 v26, s21
	;; [unrolled: 1-line block ×5, first 2 shown]
	s_movk_i32 s17, 0x67
	s_branch .LBB23_15
.LBB23_13:                              ;   in Loop: Header=BB23_15 Depth=1
	s_or_b64 exec, exec, s[26:27]
.LBB23_14:                              ;   in Loop: Header=BB23_15 Depth=1
	s_or_b64 exec, exec, s[24:25]
	v_add_u32_e32 v6, 1, v6
	v_cmp_ge_i32_e32 vcc, v6, v4
	s_xor_b64 s[2:3], s[2:3], -1
	s_or_b64 s[2:3], s[2:3], vcc
	s_and_b64 s[2:3], exec, s[2:3]
	s_or_b64 s[10:11], s[2:3], s[10:11]
	s_andn2_b64 exec, exec, s[10:11]
	s_cbranch_execz .LBB23_32
.LBB23_15:                              ; =>This Loop Header: Depth=1
                                        ;     Child Loop BB23_16 Depth 2
                                        ;     Child Loop BB23_22 Depth 2
                                        ;       Child Loop BB23_25 Depth 3
	v_ashrrev_i32_e32 v7, 31, v6
	v_lshlrev_b64 v[10:11], 2, v[6:7]
	v_add_co_u32_e32 v10, vcc, s18, v10
	v_addc_co_u32_e32 v11, vcc, v25, v11, vcc
	global_load_dword v14, v[10:11], off
	v_lshlrev_b64 v[10:11], 3, v[6:7]
	v_add_co_u32_e32 v10, vcc, s20, v10
	v_addc_co_u32_e32 v11, vcc, v26, v11, vcc
	global_load_dwordx2 v[12:13], v[10:11], off
	s_mov_b64 s[2:3], 0
	s_waitcnt vmcnt(1)
	v_subrev_u32_e32 v14, s33, v14
	v_ashrrev_i32_e32 v15, 31, v14
	v_lshlrev_b64 v[14:15], 2, v[14:15]
	v_add_co_u32_e32 v18, vcc, s16, v14
	v_addc_co_u32_e32 v19, vcc, v27, v15, vcc
	v_add_co_u32_e32 v20, vcc, s22, v14
	v_addc_co_u32_e32 v21, vcc, v28, v15, vcc
	global_load_dword v7, v[18:19], off
	global_load_dword v16, v[20:21], off
	v_add_co_u32_e32 v14, vcc, s8, v14
	v_addc_co_u32_e32 v15, vcc, v29, v15, vcc
.LBB23_16:                              ;   Parent Loop BB23_15 Depth=1
                                        ; =>  This Inner Loop Header: Depth=2
	global_load_dword v17, v[14:15], off glc
	s_waitcnt vmcnt(0)
	v_cmp_ne_u32_e32 vcc, 0, v17
	s_or_b64 s[2:3], vcc, s[2:3]
	s_andn2_b64 exec, exec, s[2:3]
	s_cbranch_execnz .LBB23_16
; %bb.17:                               ;   in Loop: Header=BB23_15 Depth=1
	s_or_b64 exec, exec, s[2:3]
	v_cmp_eq_u32_e32 vcc, -1, v16
	v_cndmask_b32_e32 v16, v16, v23, vcc
	v_ashrrev_i32_e32 v17, 31, v16
	v_lshlrev_b64 v[14:15], 3, v[16:17]
	v_add_co_u32_e32 v14, vcc, s20, v14
	v_addc_co_u32_e32 v15, vcc, v26, v15, vcc
	buffer_wbinvl1_vol
	global_load_dwordx2 v[14:15], v[14:15], off
	s_waitcnt vmcnt(0)
	v_cmp_neq_f64_e64 s[2:3], 0, v[14:15]
	s_and_saveexec_b64 s[24:25], s[2:3]
	s_cbranch_execz .LBB23_14
; %bb.18:                               ;   in Loop: Header=BB23_15 Depth=1
	v_add_u32_e32 v20, v24, v7
	v_cmp_lt_i32_e32 vcc, v20, v16
	v_pk_mov_b32 v[18:19], 0, 0
	s_and_saveexec_b64 s[26:27], vcc
	s_cbranch_execz .LBB23_30
; %bb.19:                               ;   in Loop: Header=BB23_15 Depth=1
	s_mov_b64 s[28:29], 0
	v_pk_mov_b32 v[18:19], 0, 0
	s_branch .LBB23_22
.LBB23_20:                              ;   in Loop: Header=BB23_22 Depth=2
	s_or_b64 exec, exec, s[34:35]
.LBB23_21:                              ;   in Loop: Header=BB23_22 Depth=2
	s_or_b64 exec, exec, s[30:31]
	v_add_u32_e32 v20, 64, v20
	v_cmp_ge_i32_e32 vcc, v20, v16
	s_or_b64 s[28:29], vcc, s[28:29]
	s_andn2_b64 exec, exec, s[28:29]
	s_cbranch_execz .LBB23_29
.LBB23_22:                              ;   Parent Loop BB23_15 Depth=1
                                        ; =>  This Loop Header: Depth=2
                                        ;       Child Loop BB23_25 Depth 3
	v_ashrrev_i32_e32 v21, 31, v20
	v_lshlrev_b64 v[30:31], 2, v[20:21]
	v_add_co_u32_e32 v30, vcc, s18, v30
	v_addc_co_u32_e32 v31, vcc, v25, v31, vcc
	global_load_dword v7, v[30:31], off
	s_waitcnt vmcnt(0)
	v_mul_lo_u32 v17, v7, s17
	v_and_b32_e32 v31, 0x1ff, v17
	v_lshl_add_u32 v17, v31, 2, v22
	ds_read_b32 v30, v17
	s_waitcnt lgkmcnt(0)
	v_cmp_ne_u32_e32 vcc, -1, v30
	s_and_saveexec_b64 s[30:31], vcc
	s_cbranch_execz .LBB23_21
; %bb.23:                               ;   in Loop: Header=BB23_22 Depth=2
	s_mov_b64 s[34:35], 0
                                        ; implicit-def: $sgpr36_sgpr37
                                        ; implicit-def: $sgpr40_sgpr41
                                        ; implicit-def: $sgpr38_sgpr39
	s_branch .LBB23_25
.LBB23_24:                              ;   in Loop: Header=BB23_25 Depth=3
	s_or_b64 exec, exec, s[42:43]
	s_and_b64 s[42:43], exec, s[40:41]
	s_or_b64 s[34:35], s[42:43], s[34:35]
	s_andn2_b64 s[36:37], s[36:37], exec
	s_and_b64 s[42:43], s[38:39], exec
	s_or_b64 s[36:37], s[36:37], s[42:43]
	s_andn2_b64 exec, exec, s[34:35]
	s_cbranch_execz .LBB23_27
.LBB23_25:                              ;   Parent Loop BB23_15 Depth=1
                                        ;     Parent Loop BB23_22 Depth=2
                                        ; =>    This Inner Loop Header: Depth=3
	v_mov_b32_e32 v17, v31
	v_cmp_ne_u32_e32 vcc, v30, v7
	s_or_b64 s[38:39], s[38:39], exec
	s_or_b64 s[40:41], s[40:41], exec
                                        ; implicit-def: $vgpr31
                                        ; implicit-def: $vgpr30
	s_and_saveexec_b64 s[42:43], vcc
	s_cbranch_execz .LBB23_24
; %bb.26:                               ;   in Loop: Header=BB23_25 Depth=3
	v_add_u32_e32 v30, 1, v17
	v_and_b32_e32 v31, 0x1ff, v30
	v_lshl_add_u32 v30, v31, 2, v22
	ds_read_b32 v30, v30
	s_andn2_b64 s[40:41], s[40:41], exec
	s_andn2_b64 s[38:39], s[38:39], exec
	s_waitcnt lgkmcnt(0)
	v_cmp_eq_u32_e32 vcc, -1, v30
	s_and_b64 s[44:45], vcc, exec
	s_or_b64 s[40:41], s[40:41], s[44:45]
	s_branch .LBB23_24
.LBB23_27:                              ;   in Loop: Header=BB23_22 Depth=2
	s_or_b64 exec, exec, s[34:35]
	s_and_saveexec_b64 s[34:35], s[36:37]
	s_xor_b64 s[34:35], exec, s[34:35]
	s_cbranch_execz .LBB23_20
; %bb.28:                               ;   in Loop: Header=BB23_22 Depth=2
	v_lshl_add_u32 v7, v17, 2, v3
	ds_read_b32 v30, v7
	v_lshlrev_b64 v[32:33], 3, v[20:21]
	v_add_co_u32_e32 v32, vcc, s20, v32
	v_addc_co_u32_e32 v33, vcc, v26, v33, vcc
	s_waitcnt lgkmcnt(0)
	v_ashrrev_i32_e32 v31, 31, v30
	v_lshlrev_b64 v[30:31], 3, v[30:31]
	v_add_co_u32_e32 v30, vcc, s20, v30
	v_addc_co_u32_e32 v31, vcc, v26, v31, vcc
	global_load_dwordx2 v[34:35], v[32:33], off
	global_load_dwordx2 v[36:37], v[30:31], off
	s_waitcnt vmcnt(0)
	v_fmac_f64_e32 v[18:19], v[34:35], v[36:37]
	s_branch .LBB23_20
.LBB23_29:                              ;   in Loop: Header=BB23_15 Depth=1
	s_or_b64 exec, exec, s[28:29]
.LBB23_30:                              ;   in Loop: Header=BB23_15 Depth=1
	s_or_b64 exec, exec, s[26:27]
	v_mov_b32_dpp v16, v18 row_shr:1 row_mask:0xf bank_mask:0xf
	v_mov_b32_dpp v17, v19 row_shr:1 row_mask:0xf bank_mask:0xf
	v_add_f64 v[16:17], v[18:19], v[16:17]
	s_nop 1
	v_mov_b32_dpp v18, v16 row_shr:2 row_mask:0xf bank_mask:0xf
	v_mov_b32_dpp v19, v17 row_shr:2 row_mask:0xf bank_mask:0xf
	v_add_f64 v[16:17], v[16:17], v[18:19]
	s_nop 1
	;; [unrolled: 4-line block ×4, first 2 shown]
	v_mov_b32_dpp v18, v16 row_bcast:15 row_mask:0xa bank_mask:0xf
	v_mov_b32_dpp v19, v17 row_bcast:15 row_mask:0xa bank_mask:0xf
	v_add_f64 v[16:17], v[16:17], v[18:19]
	s_nop 1
	v_mov_b32_dpp v18, v16 row_bcast:31 row_mask:0xc bank_mask:0xf
	v_mov_b32_dpp v19, v17 row_bcast:31 row_mask:0xc bank_mask:0xf
	s_and_saveexec_b64 s[26:27], s[0:1]
	s_cbranch_execz .LBB23_13
; %bb.31:                               ;   in Loop: Header=BB23_15 Depth=1
	v_div_scale_f64 v[20:21], s[28:29], v[14:15], v[14:15], 1.0
	v_rcp_f64_e32 v[30:31], v[20:21]
	v_div_scale_f64 v[32:33], vcc, 1.0, v[14:15], 1.0
	v_add_f64 v[16:17], v[16:17], v[18:19]
	v_fma_f64 v[34:35], -v[20:21], v[30:31], 1.0
	v_fmac_f64_e32 v[30:31], v[30:31], v[34:35]
	v_fma_f64 v[34:35], -v[20:21], v[30:31], 1.0
	v_fmac_f64_e32 v[30:31], v[30:31], v[34:35]
	v_mul_f64 v[34:35], v[32:33], v[30:31]
	v_fma_f64 v[20:21], -v[20:21], v[34:35], v[32:33]
	v_div_fmas_f64 v[20:21], v[20:21], v[30:31], v[34:35]
	v_div_fixup_f64 v[14:15], v[20:21], v[14:15], 1.0
	v_add_f64 v[12:13], v[12:13], -v[16:17]
	v_mul_f64 v[12:13], v[14:15], v[12:13]
	v_fmac_f64_e32 v[8:9], v[12:13], v[12:13]
	global_store_dwordx2 v[10:11], v[12:13], off
	s_branch .LBB23_13
.LBB23_32:
	s_or_b64 exec, exec, s[10:11]
.LBB23_33:
	s_or_b64 exec, exec, s[6:7]
	v_cmp_eq_u32_e32 vcc, 63, v5
	v_cmp_lt_i32_e64 s[0:1], -1, v4
	s_and_b64 s[0:1], vcc, s[0:1]
	s_and_saveexec_b64 s[2:3], s[0:1]
	s_cbranch_execz .LBB23_44
; %bb.34:
	v_mov_b32_e32 v5, 0
	v_lshlrev_b64 v[4:5], 3, v[4:5]
	v_mov_b32_e32 v3, s21
	v_add_co_u32_e64 v4, s[0:1], s20, v4
	v_addc_co_u32_e64 v5, s[0:1], v3, v5, s[0:1]
	global_load_dwordx2 v[6:7], v[4:5], off
	s_load_dwordx2 s[0:1], s[4:5], 0x48
	v_add_u32_e32 v2, s33, v2
	s_waitcnt lgkmcnt(0)
	v_mul_f64 v[10:11], s[0:1], s[0:1]
	s_waitcnt vmcnt(0)
	v_add_f64 v[6:7], v[6:7], -v[8:9]
	v_cmp_le_f64_e64 s[0:1], v[6:7], v[10:11]
	s_and_saveexec_b64 s[4:5], s[0:1]
	s_cbranch_execz .LBB23_39
; %bb.35:
	s_mov_b64 s[0:1], exec
	s_brev_b32 s6, -2
.LBB23_36:                              ; =>This Inner Loop Header: Depth=1
	s_ff1_i32_b64 s7, s[0:1]
	v_readlane_b32 s16, v2, s7
	s_lshl_b64 s[10:11], 1, s7
	s_min_i32 s6, s6, s16
	s_andn2_b64 s[0:1], s[0:1], s[10:11]
	s_cmp_lg_u64 s[0:1], 0
	s_cbranch_scc1 .LBB23_36
; %bb.37:
	v_mbcnt_lo_u32_b32 v3, exec_lo, 0
	v_mbcnt_hi_u32_b32 v3, exec_hi, v3
	v_cmp_eq_u32_e64 s[0:1], 0, v3
	s_and_saveexec_b64 s[10:11], s[0:1]
	s_xor_b64 s[10:11], exec, s[10:11]
	s_cbranch_execz .LBB23_39
; %bb.38:
	v_mov_b32_e32 v3, 0
	v_mov_b32_e32 v8, s6
	global_atomic_smin v3, v8, s[14:15]
.LBB23_39:
	s_or_b64 exec, exec, s[4:5]
	v_xor_b32_e32 v3, 0x80000000, v7
	v_cmp_gt_f64_e64 s[0:1], 0, v[6:7]
	v_cndmask_b32_e64 v7, v7, v3, s[0:1]
	v_cndmask_b32_e64 v6, v6, v6, s[0:1]
	s_mov_b32 s0, 0
	s_brev_b32 s1, 8
	v_cmp_gt_f64_e64 s[0:1], s[0:1], v[6:7]
	v_cndmask_b32_e64 v3, 0, 1, s[0:1]
	v_lshlrev_b32_e32 v3, 8, v3
	v_ldexp_f64 v[6:7], v[6:7], v3
	v_rsq_f64_e32 v[8:9], v[6:7]
	v_mov_b32_e32 v3, 0xffffff80
	v_cndmask_b32_e64 v3, 0, v3, s[0:1]
	v_mul_f64 v[10:11], v[6:7], v[8:9]
	v_mul_f64 v[8:9], v[8:9], 0.5
	v_fma_f64 v[12:13], -v[8:9], v[10:11], 0.5
	v_fmac_f64_e32 v[10:11], v[10:11], v[12:13]
	v_fma_f64 v[14:15], -v[10:11], v[10:11], v[6:7]
	v_fmac_f64_e32 v[8:9], v[8:9], v[12:13]
	v_fmac_f64_e32 v[10:11], v[14:15], v[8:9]
	v_fma_f64 v[12:13], -v[10:11], v[10:11], v[6:7]
	v_fmac_f64_e32 v[10:11], v[12:13], v[8:9]
	v_ldexp_f64 v[8:9], v[10:11], v3
	v_mov_b32_e32 v3, 0x260
	v_cmp_class_f64_e64 s[0:1], v[6:7], v3
	v_cndmask_b32_e64 v7, v9, v7, s[0:1]
	v_cndmask_b32_e64 v6, v8, v6, s[0:1]
	v_cmp_eq_f64_e64 s[0:1], 0, v[6:7]
	global_store_dwordx2 v[4:5], v[6:7], off
	s_and_b64 exec, exec, s[0:1]
	s_cbranch_execz .LBB23_44
; %bb.40:
	s_mov_b64 s[0:1], exec
	s_brev_b32 s4, -2
.LBB23_41:                              ; =>This Inner Loop Header: Depth=1
	s_ff1_i32_b64 s5, s[0:1]
	v_readlane_b32 s10, v2, s5
	s_lshl_b64 s[6:7], 1, s5
	s_min_i32 s4, s4, s10
	s_andn2_b64 s[0:1], s[0:1], s[6:7]
	s_cmp_lg_u64 s[0:1], 0
	s_cbranch_scc1 .LBB23_41
; %bb.42:
	v_mbcnt_lo_u32_b32 v2, exec_lo, 0
	v_mbcnt_hi_u32_b32 v2, exec_hi, v2
	v_cmp_eq_u32_e64 s[0:1], 0, v2
	s_and_saveexec_b64 s[6:7], s[0:1]
	s_xor_b64 s[6:7], exec, s[6:7]
	s_cbranch_execz .LBB23_44
; %bb.43:
	v_mov_b32_e32 v2, 0
	v_mov_b32_e32 v3, s4
	global_atomic_smin v2, v3, s[12:13]
.LBB23_44:
	s_or_b64 exec, exec, s[2:3]
	s_and_b64 exec, exec, vcc
	s_cbranch_execz .LBB23_46
; %bb.45:
	v_mov_b32_e32 v2, s9
	v_add_co_u32_e32 v0, vcc, s8, v0
	v_addc_co_u32_e32 v1, vcc, v2, v1, vcc
	v_mov_b32_e32 v2, 1
	s_waitcnt vmcnt(0)
	global_store_dword v[0:1], v2, off
.LBB23_46:
	s_endpgm
	.section	.rodata,"a",@progbits
	.p2align	6, 0x0
	.amdhsa_kernel _ZN9rocsparseL18csric0_hash_kernelILj256ELj64ELj8EdEEviPKiS2_PT2_S2_PiS2_S5_S5_d21rocsparse_index_base_
		.amdhsa_group_segment_fixed_size 16384
		.amdhsa_private_segment_fixed_size 0
		.amdhsa_kernarg_size 84
		.amdhsa_user_sgpr_count 6
		.amdhsa_user_sgpr_private_segment_buffer 1
		.amdhsa_user_sgpr_dispatch_ptr 0
		.amdhsa_user_sgpr_queue_ptr 0
		.amdhsa_user_sgpr_kernarg_segment_ptr 1
		.amdhsa_user_sgpr_dispatch_id 0
		.amdhsa_user_sgpr_flat_scratch_init 0
		.amdhsa_user_sgpr_kernarg_preload_length 0
		.amdhsa_user_sgpr_kernarg_preload_offset 0
		.amdhsa_user_sgpr_private_segment_size 0
		.amdhsa_uses_dynamic_stack 0
		.amdhsa_system_sgpr_private_segment_wavefront_offset 0
		.amdhsa_system_sgpr_workgroup_id_x 1
		.amdhsa_system_sgpr_workgroup_id_y 0
		.amdhsa_system_sgpr_workgroup_id_z 0
		.amdhsa_system_sgpr_workgroup_info 0
		.amdhsa_system_vgpr_workitem_id 0
		.amdhsa_next_free_vgpr 38
		.amdhsa_next_free_sgpr 46
		.amdhsa_accum_offset 40
		.amdhsa_reserve_vcc 1
		.amdhsa_reserve_flat_scratch 0
		.amdhsa_float_round_mode_32 0
		.amdhsa_float_round_mode_16_64 0
		.amdhsa_float_denorm_mode_32 3
		.amdhsa_float_denorm_mode_16_64 3
		.amdhsa_dx10_clamp 1
		.amdhsa_ieee_mode 1
		.amdhsa_fp16_overflow 0
		.amdhsa_tg_split 0
		.amdhsa_exception_fp_ieee_invalid_op 0
		.amdhsa_exception_fp_denorm_src 0
		.amdhsa_exception_fp_ieee_div_zero 0
		.amdhsa_exception_fp_ieee_overflow 0
		.amdhsa_exception_fp_ieee_underflow 0
		.amdhsa_exception_fp_ieee_inexact 0
		.amdhsa_exception_int_div_zero 0
	.end_amdhsa_kernel
	.section	.text._ZN9rocsparseL18csric0_hash_kernelILj256ELj64ELj8EdEEviPKiS2_PT2_S2_PiS2_S5_S5_d21rocsparse_index_base_,"axG",@progbits,_ZN9rocsparseL18csric0_hash_kernelILj256ELj64ELj8EdEEviPKiS2_PT2_S2_PiS2_S5_S5_d21rocsparse_index_base_,comdat
.Lfunc_end23:
	.size	_ZN9rocsparseL18csric0_hash_kernelILj256ELj64ELj8EdEEviPKiS2_PT2_S2_PiS2_S5_S5_d21rocsparse_index_base_, .Lfunc_end23-_ZN9rocsparseL18csric0_hash_kernelILj256ELj64ELj8EdEEviPKiS2_PT2_S2_PiS2_S5_S5_d21rocsparse_index_base_
                                        ; -- End function
	.section	.AMDGPU.csdata,"",@progbits
; Kernel info:
; codeLenInByte = 2104
; NumSgprs: 50
; NumVgprs: 38
; NumAgprs: 0
; TotalNumVgprs: 38
; ScratchSize: 0
; MemoryBound: 0
; FloatMode: 240
; IeeeMode: 1
; LDSByteSize: 16384 bytes/workgroup (compile time only)
; SGPRBlocks: 6
; VGPRBlocks: 4
; NumSGPRsForWavesPerEU: 50
; NumVGPRsForWavesPerEU: 38
; AccumOffset: 40
; Occupancy: 4
; WaveLimiterHint : 1
; COMPUTE_PGM_RSRC2:SCRATCH_EN: 0
; COMPUTE_PGM_RSRC2:USER_SGPR: 6
; COMPUTE_PGM_RSRC2:TRAP_HANDLER: 0
; COMPUTE_PGM_RSRC2:TGID_X_EN: 1
; COMPUTE_PGM_RSRC2:TGID_Y_EN: 0
; COMPUTE_PGM_RSRC2:TGID_Z_EN: 0
; COMPUTE_PGM_RSRC2:TIDIG_COMP_CNT: 0
; COMPUTE_PGM_RSRC3_GFX90A:ACCUM_OFFSET: 9
; COMPUTE_PGM_RSRC3_GFX90A:TG_SPLIT: 0
	.section	.text._ZN9rocsparseL18csric0_hash_kernelILj256ELj64ELj16EdEEviPKiS2_PT2_S2_PiS2_S5_S5_d21rocsparse_index_base_,"axG",@progbits,_ZN9rocsparseL18csric0_hash_kernelILj256ELj64ELj16EdEEviPKiS2_PT2_S2_PiS2_S5_S5_d21rocsparse_index_base_,comdat
	.globl	_ZN9rocsparseL18csric0_hash_kernelILj256ELj64ELj16EdEEviPKiS2_PT2_S2_PiS2_S5_S5_d21rocsparse_index_base_ ; -- Begin function _ZN9rocsparseL18csric0_hash_kernelILj256ELj64ELj16EdEEviPKiS2_PT2_S2_PiS2_S5_S5_d21rocsparse_index_base_
	.p2align	8
	.type	_ZN9rocsparseL18csric0_hash_kernelILj256ELj64ELj16EdEEviPKiS2_PT2_S2_PiS2_S5_S5_d21rocsparse_index_base_,@function
_ZN9rocsparseL18csric0_hash_kernelILj256ELj64ELj16EdEEviPKiS2_PT2_S2_PiS2_S5_S5_d21rocsparse_index_base_: ; @_ZN9rocsparseL18csric0_hash_kernelILj256ELj64ELj16EdEEviPKiS2_PT2_S2_PiS2_S5_S5_d21rocsparse_index_base_
; %bb.0:
	s_load_dwordx8 s[16:23], s[4:5], 0x8
	s_load_dwordx8 s[8:15], s[4:5], 0x28
	v_and_b32_e32 v7, 63, v0
	v_lshrrev_b32_e32 v1, 6, v0
	v_lshlrev_b32_e32 v3, 12, v1
	v_lshlrev_b32_e32 v4, 2, v7
	s_movk_i32 s0, 0x4000
	v_or_b32_e32 v2, 0xffffffc0, v7
	v_or3_b32 v3, v3, v4, s0
	s_mov_b64 s[0:1], 0
	v_mov_b32_e32 v4, -1
	s_movk_i32 s2, 0x3bf
.LBB24_1:                               ; =>This Inner Loop Header: Depth=1
	v_add_u32_e32 v2, 64, v2
	v_cmp_lt_u32_e32 vcc, s2, v2
	ds_write_b32 v3, v4
	s_or_b64 s[0:1], vcc, s[0:1]
	v_add_u32_e32 v3, 0x100, v3
	s_andn2_b64 exec, exec, s[0:1]
	s_cbranch_execnz .LBB24_1
; %bb.2:
	s_or_b64 exec, exec, s[0:1]
	s_load_dword s0, s[4:5], 0x0
	s_lshl_b32 s1, s6, 2
	s_and_b32 s1, s1, 0x3fffffc
	v_or_b32_e32 v1, s1, v1
	s_waitcnt lgkmcnt(0)
	v_cmp_gt_i32_e32 vcc, s0, v1
	s_and_saveexec_b64 s[0:1], vcc
	s_cbranch_execz .LBB24_48
; %bb.3:
	v_lshlrev_b32_e32 v1, 2, v1
	global_load_dword v4, v1, s[10:11]
	v_mov_b32_e32 v6, s17
	v_mov_b32_e32 v1, s23
	s_load_dword s33, s[4:5], 0x50
	v_lshlrev_b32_e32 v0, 6, v0
	s_waitcnt vmcnt(0)
	v_ashrrev_i32_e32 v5, 31, v4
	v_lshlrev_b64 v[2:3], 2, v[4:5]
	v_add_co_u32_e32 v8, vcc, s16, v2
	v_addc_co_u32_e32 v9, vcc, v6, v3, vcc
	global_load_dwordx2 v[8:9], v[8:9], off
	v_add_co_u32_e32 v10, vcc, s22, v2
	v_addc_co_u32_e32 v11, vcc, v1, v3, vcc
	global_load_dword v6, v[10:11], off
	v_and_b32_e32 v5, 0x3000, v0
	v_or_b32_e32 v22, 0x4000, v5
	s_waitcnt vmcnt(1) lgkmcnt(0)
	v_subrev_u32_e32 v0, s33, v8
	v_subrev_u32_e32 v1, s33, v9
	v_add_u32_e32 v8, v0, v7
	v_cmp_lt_i32_e32 vcc, v8, v1
	s_and_saveexec_b64 s[0:1], vcc
	s_cbranch_execz .LBB24_13
; %bb.4:
	s_mov_b64 s[2:3], 0
	v_mov_b32_e32 v10, s19
	s_movk_i32 s34, 0x67
	v_mov_b32_e32 v11, -1
	s_branch .LBB24_6
.LBB24_5:                               ;   in Loop: Header=BB24_6 Depth=1
	s_or_b64 exec, exec, s[6:7]
	v_add_u32_e32 v8, 64, v8
	v_cmp_ge_i32_e32 vcc, v8, v1
	s_or_b64 s[2:3], vcc, s[2:3]
	s_andn2_b64 exec, exec, s[2:3]
	s_cbranch_execz .LBB24_13
.LBB24_6:                               ; =>This Loop Header: Depth=1
                                        ;     Child Loop BB24_9 Depth 2
	v_ashrrev_i32_e32 v9, 31, v8
	v_lshlrev_b64 v[12:13], 2, v[8:9]
	v_add_co_u32_e32 v12, vcc, s18, v12
	v_addc_co_u32_e32 v13, vcc, v10, v13, vcc
	global_load_dword v9, v[12:13], off
	s_waitcnt vmcnt(0)
	v_mul_lo_u32 v12, v9, s34
	v_and_b32_e32 v12, 0x3ff, v12
	v_lshl_add_u32 v13, v12, 2, v22
	ds_read_b32 v14, v13
	s_waitcnt lgkmcnt(0)
	v_cmp_ne_u32_e32 vcc, v14, v9
	s_and_saveexec_b64 s[6:7], vcc
	s_cbranch_execz .LBB24_5
; %bb.7:                                ;   in Loop: Header=BB24_6 Depth=1
	s_mov_b64 s[10:11], 0
                                        ; implicit-def: $sgpr24_sgpr25
                                        ; implicit-def: $sgpr28_sgpr29
                                        ; implicit-def: $sgpr26_sgpr27
	s_branch .LBB24_9
.LBB24_8:                               ;   in Loop: Header=BB24_9 Depth=2
	s_or_b64 exec, exec, s[30:31]
	s_and_b64 s[30:31], exec, s[28:29]
	s_or_b64 s[10:11], s[30:31], s[10:11]
	s_andn2_b64 s[24:25], s[24:25], exec
	s_and_b64 s[30:31], s[26:27], exec
	s_or_b64 s[24:25], s[24:25], s[30:31]
	s_andn2_b64 exec, exec, s[10:11]
	s_cbranch_execz .LBB24_11
.LBB24_9:                               ;   Parent Loop BB24_6 Depth=1
                                        ; =>  This Inner Loop Header: Depth=2
	ds_cmpst_rtn_b32 v13, v13, v11, v9
	v_mov_b32_e32 v14, v12
	s_or_b64 s[26:27], s[26:27], exec
	s_or_b64 s[28:29], s[28:29], exec
                                        ; implicit-def: $vgpr12
	s_waitcnt lgkmcnt(0)
	v_cmp_ne_u32_e32 vcc, -1, v13
                                        ; implicit-def: $vgpr13
	s_and_saveexec_b64 s[30:31], vcc
	s_cbranch_execz .LBB24_8
; %bb.10:                               ;   in Loop: Header=BB24_9 Depth=2
	v_add_u32_e32 v12, 1, v14
	v_and_b32_e32 v12, 0x3ff, v12
	v_lshl_add_u32 v13, v12, 2, v22
	ds_read_b32 v15, v13
	s_andn2_b64 s[28:29], s[28:29], exec
	s_andn2_b64 s[26:27], s[26:27], exec
	s_waitcnt lgkmcnt(0)
	v_cmp_eq_u32_e32 vcc, v15, v9
	s_and_b64 s[36:37], vcc, exec
	s_or_b64 s[28:29], s[28:29], s[36:37]
	s_branch .LBB24_8
.LBB24_11:                              ;   in Loop: Header=BB24_6 Depth=1
	s_or_b64 exec, exec, s[10:11]
	s_and_saveexec_b64 s[10:11], s[24:25]
	s_xor_b64 s[10:11], exec, s[10:11]
	s_cbranch_execz .LBB24_5
; %bb.12:                               ;   in Loop: Header=BB24_6 Depth=1
	v_lshl_add_u32 v9, v14, 2, v5
	ds_write_b32 v9, v8
	s_branch .LBB24_5
.LBB24_13:
	s_or_b64 exec, exec, s[0:1]
	s_waitcnt vmcnt(0)
	v_cmp_lt_i32_e32 vcc, v0, v6
	v_pk_mov_b32 v[8:9], 0, 0
	s_waitcnt lgkmcnt(0)
	s_and_saveexec_b64 s[6:7], vcc
	s_cbranch_execz .LBB24_35
; %bb.14:
	v_add_u32_e32 v23, -1, v6
	v_subrev_u32_e32 v24, s33, v7
	v_cmp_eq_u32_e64 s[0:1], 63, v7
	s_mov_b64 s[10:11], 0
	v_pk_mov_b32 v[8:9], 0, 0
	v_mov_b32_e32 v25, s19
	v_mov_b32_e32 v26, s21
	;; [unrolled: 1-line block ×5, first 2 shown]
	s_movk_i32 s17, 0x67
	s_branch .LBB24_17
.LBB24_15:                              ;   in Loop: Header=BB24_17 Depth=1
	s_or_b64 exec, exec, s[26:27]
.LBB24_16:                              ;   in Loop: Header=BB24_17 Depth=1
	s_or_b64 exec, exec, s[24:25]
	v_add_u32_e32 v0, 1, v0
	v_cmp_ge_i32_e32 vcc, v0, v6
	s_xor_b64 s[2:3], s[2:3], -1
	s_or_b64 s[2:3], s[2:3], vcc
	s_and_b64 s[2:3], exec, s[2:3]
	s_or_b64 s[10:11], s[2:3], s[10:11]
	s_andn2_b64 exec, exec, s[10:11]
	s_cbranch_execz .LBB24_34
.LBB24_17:                              ; =>This Loop Header: Depth=1
                                        ;     Child Loop BB24_18 Depth 2
                                        ;     Child Loop BB24_24 Depth 2
                                        ;       Child Loop BB24_27 Depth 3
	v_ashrrev_i32_e32 v1, 31, v0
	v_lshlrev_b64 v[10:11], 2, v[0:1]
	v_add_co_u32_e32 v10, vcc, s18, v10
	v_addc_co_u32_e32 v11, vcc, v25, v11, vcc
	global_load_dword v14, v[10:11], off
	v_lshlrev_b64 v[10:11], 3, v[0:1]
	v_add_co_u32_e32 v10, vcc, s20, v10
	v_addc_co_u32_e32 v11, vcc, v26, v11, vcc
	global_load_dwordx2 v[12:13], v[10:11], off
	s_mov_b64 s[2:3], 0
	s_waitcnt vmcnt(1)
	v_subrev_u32_e32 v14, s33, v14
	v_ashrrev_i32_e32 v15, 31, v14
	v_lshlrev_b64 v[14:15], 2, v[14:15]
	v_add_co_u32_e32 v18, vcc, s16, v14
	v_addc_co_u32_e32 v19, vcc, v27, v15, vcc
	v_add_co_u32_e32 v20, vcc, s22, v14
	v_addc_co_u32_e32 v21, vcc, v28, v15, vcc
	global_load_dword v1, v[18:19], off
	global_load_dword v16, v[20:21], off
	v_add_co_u32_e32 v14, vcc, s8, v14
	v_addc_co_u32_e32 v15, vcc, v29, v15, vcc
.LBB24_18:                              ;   Parent Loop BB24_17 Depth=1
                                        ; =>  This Inner Loop Header: Depth=2
	global_load_dword v17, v[14:15], off glc
	s_waitcnt vmcnt(0)
	v_cmp_ne_u32_e32 vcc, 0, v17
	s_or_b64 s[2:3], vcc, s[2:3]
	s_andn2_b64 exec, exec, s[2:3]
	s_cbranch_execnz .LBB24_18
; %bb.19:                               ;   in Loop: Header=BB24_17 Depth=1
	s_or_b64 exec, exec, s[2:3]
	v_cmp_eq_u32_e32 vcc, -1, v16
	v_cndmask_b32_e32 v16, v16, v23, vcc
	v_ashrrev_i32_e32 v17, 31, v16
	v_lshlrev_b64 v[14:15], 3, v[16:17]
	v_add_co_u32_e32 v14, vcc, s20, v14
	v_addc_co_u32_e32 v15, vcc, v26, v15, vcc
	buffer_wbinvl1_vol
	global_load_dwordx2 v[14:15], v[14:15], off
	s_waitcnt vmcnt(0)
	v_cmp_neq_f64_e64 s[2:3], 0, v[14:15]
	s_and_saveexec_b64 s[24:25], s[2:3]
	s_cbranch_execz .LBB24_16
; %bb.20:                               ;   in Loop: Header=BB24_17 Depth=1
	v_add_u32_e32 v20, v24, v1
	v_cmp_lt_i32_e32 vcc, v20, v16
	v_pk_mov_b32 v[18:19], 0, 0
	s_and_saveexec_b64 s[26:27], vcc
	s_cbranch_execz .LBB24_32
; %bb.21:                               ;   in Loop: Header=BB24_17 Depth=1
	s_mov_b64 s[28:29], 0
	v_pk_mov_b32 v[18:19], 0, 0
	s_branch .LBB24_24
.LBB24_22:                              ;   in Loop: Header=BB24_24 Depth=2
	s_or_b64 exec, exec, s[34:35]
.LBB24_23:                              ;   in Loop: Header=BB24_24 Depth=2
	s_or_b64 exec, exec, s[30:31]
	v_add_u32_e32 v20, 64, v20
	v_cmp_ge_i32_e32 vcc, v20, v16
	s_or_b64 s[28:29], vcc, s[28:29]
	s_andn2_b64 exec, exec, s[28:29]
	s_cbranch_execz .LBB24_31
.LBB24_24:                              ;   Parent Loop BB24_17 Depth=1
                                        ; =>  This Loop Header: Depth=2
                                        ;       Child Loop BB24_27 Depth 3
	v_ashrrev_i32_e32 v21, 31, v20
	v_lshlrev_b64 v[30:31], 2, v[20:21]
	v_add_co_u32_e32 v30, vcc, s18, v30
	v_addc_co_u32_e32 v31, vcc, v25, v31, vcc
	global_load_dword v1, v[30:31], off
	s_waitcnt vmcnt(0)
	v_mul_lo_u32 v17, v1, s17
	v_and_b32_e32 v31, 0x3ff, v17
	v_lshl_add_u32 v17, v31, 2, v22
	ds_read_b32 v30, v17
	s_waitcnt lgkmcnt(0)
	v_cmp_ne_u32_e32 vcc, -1, v30
	s_and_saveexec_b64 s[30:31], vcc
	s_cbranch_execz .LBB24_23
; %bb.25:                               ;   in Loop: Header=BB24_24 Depth=2
	s_mov_b64 s[34:35], 0
                                        ; implicit-def: $sgpr36_sgpr37
                                        ; implicit-def: $sgpr40_sgpr41
                                        ; implicit-def: $sgpr38_sgpr39
	s_branch .LBB24_27
.LBB24_26:                              ;   in Loop: Header=BB24_27 Depth=3
	s_or_b64 exec, exec, s[42:43]
	s_and_b64 s[42:43], exec, s[40:41]
	s_or_b64 s[34:35], s[42:43], s[34:35]
	s_andn2_b64 s[36:37], s[36:37], exec
	s_and_b64 s[42:43], s[38:39], exec
	s_or_b64 s[36:37], s[36:37], s[42:43]
	s_andn2_b64 exec, exec, s[34:35]
	s_cbranch_execz .LBB24_29
.LBB24_27:                              ;   Parent Loop BB24_17 Depth=1
                                        ;     Parent Loop BB24_24 Depth=2
                                        ; =>    This Inner Loop Header: Depth=3
	v_mov_b32_e32 v17, v31
	v_cmp_ne_u32_e32 vcc, v30, v1
	s_or_b64 s[38:39], s[38:39], exec
	s_or_b64 s[40:41], s[40:41], exec
                                        ; implicit-def: $vgpr31
                                        ; implicit-def: $vgpr30
	s_and_saveexec_b64 s[42:43], vcc
	s_cbranch_execz .LBB24_26
; %bb.28:                               ;   in Loop: Header=BB24_27 Depth=3
	v_add_u32_e32 v30, 1, v17
	v_and_b32_e32 v31, 0x3ff, v30
	v_lshl_add_u32 v30, v31, 2, v22
	ds_read_b32 v30, v30
	s_andn2_b64 s[40:41], s[40:41], exec
	s_andn2_b64 s[38:39], s[38:39], exec
	s_waitcnt lgkmcnt(0)
	v_cmp_eq_u32_e32 vcc, -1, v30
	s_and_b64 s[44:45], vcc, exec
	s_or_b64 s[40:41], s[40:41], s[44:45]
	s_branch .LBB24_26
.LBB24_29:                              ;   in Loop: Header=BB24_24 Depth=2
	s_or_b64 exec, exec, s[34:35]
	s_and_saveexec_b64 s[34:35], s[36:37]
	s_xor_b64 s[34:35], exec, s[34:35]
	s_cbranch_execz .LBB24_22
; %bb.30:                               ;   in Loop: Header=BB24_24 Depth=2
	v_lshl_add_u32 v1, v17, 2, v5
	ds_read_b32 v30, v1
	v_lshlrev_b64 v[32:33], 3, v[20:21]
	v_add_co_u32_e32 v32, vcc, s20, v32
	v_addc_co_u32_e32 v33, vcc, v26, v33, vcc
	s_waitcnt lgkmcnt(0)
	v_ashrrev_i32_e32 v31, 31, v30
	v_lshlrev_b64 v[30:31], 3, v[30:31]
	v_add_co_u32_e32 v30, vcc, s20, v30
	v_addc_co_u32_e32 v31, vcc, v26, v31, vcc
	global_load_dwordx2 v[34:35], v[32:33], off
	global_load_dwordx2 v[36:37], v[30:31], off
	s_waitcnt vmcnt(0)
	v_fmac_f64_e32 v[18:19], v[34:35], v[36:37]
	s_branch .LBB24_22
.LBB24_31:                              ;   in Loop: Header=BB24_17 Depth=1
	s_or_b64 exec, exec, s[28:29]
.LBB24_32:                              ;   in Loop: Header=BB24_17 Depth=1
	s_or_b64 exec, exec, s[26:27]
	v_mov_b32_dpp v16, v18 row_shr:1 row_mask:0xf bank_mask:0xf
	v_mov_b32_dpp v17, v19 row_shr:1 row_mask:0xf bank_mask:0xf
	v_add_f64 v[16:17], v[18:19], v[16:17]
	s_nop 1
	v_mov_b32_dpp v18, v16 row_shr:2 row_mask:0xf bank_mask:0xf
	v_mov_b32_dpp v19, v17 row_shr:2 row_mask:0xf bank_mask:0xf
	v_add_f64 v[16:17], v[16:17], v[18:19]
	s_nop 1
	;; [unrolled: 4-line block ×4, first 2 shown]
	v_mov_b32_dpp v18, v16 row_bcast:15 row_mask:0xa bank_mask:0xf
	v_mov_b32_dpp v19, v17 row_bcast:15 row_mask:0xa bank_mask:0xf
	v_add_f64 v[16:17], v[16:17], v[18:19]
	s_nop 1
	v_mov_b32_dpp v18, v16 row_bcast:31 row_mask:0xc bank_mask:0xf
	v_mov_b32_dpp v19, v17 row_bcast:31 row_mask:0xc bank_mask:0xf
	s_and_saveexec_b64 s[26:27], s[0:1]
	s_cbranch_execz .LBB24_15
; %bb.33:                               ;   in Loop: Header=BB24_17 Depth=1
	v_div_scale_f64 v[20:21], s[28:29], v[14:15], v[14:15], 1.0
	v_rcp_f64_e32 v[30:31], v[20:21]
	v_div_scale_f64 v[32:33], vcc, 1.0, v[14:15], 1.0
	v_add_f64 v[16:17], v[16:17], v[18:19]
	v_fma_f64 v[34:35], -v[20:21], v[30:31], 1.0
	v_fmac_f64_e32 v[30:31], v[30:31], v[34:35]
	v_fma_f64 v[34:35], -v[20:21], v[30:31], 1.0
	v_fmac_f64_e32 v[30:31], v[30:31], v[34:35]
	v_mul_f64 v[34:35], v[32:33], v[30:31]
	v_fma_f64 v[20:21], -v[20:21], v[34:35], v[32:33]
	v_div_fmas_f64 v[20:21], v[20:21], v[30:31], v[34:35]
	v_div_fixup_f64 v[14:15], v[20:21], v[14:15], 1.0
	v_add_f64 v[12:13], v[12:13], -v[16:17]
	v_mul_f64 v[12:13], v[14:15], v[12:13]
	v_fmac_f64_e32 v[8:9], v[12:13], v[12:13]
	global_store_dwordx2 v[10:11], v[12:13], off
	s_branch .LBB24_15
.LBB24_34:
	s_or_b64 exec, exec, s[10:11]
.LBB24_35:
	s_or_b64 exec, exec, s[6:7]
	v_cmp_eq_u32_e32 vcc, 63, v7
	v_cmp_lt_i32_e64 s[0:1], -1, v6
	s_and_b64 s[0:1], vcc, s[0:1]
	s_and_saveexec_b64 s[2:3], s[0:1]
	s_cbranch_execz .LBB24_46
; %bb.36:
	v_mov_b32_e32 v7, 0
	v_lshlrev_b64 v[0:1], 3, v[6:7]
	v_mov_b32_e32 v5, s21
	v_add_co_u32_e64 v0, s[0:1], s20, v0
	v_addc_co_u32_e64 v1, s[0:1], v5, v1, s[0:1]
	global_load_dwordx2 v[6:7], v[0:1], off
	s_load_dwordx2 s[0:1], s[4:5], 0x48
	v_add_u32_e32 v4, s33, v4
	s_waitcnt lgkmcnt(0)
	v_mul_f64 v[10:11], s[0:1], s[0:1]
	s_waitcnt vmcnt(0)
	v_add_f64 v[6:7], v[6:7], -v[8:9]
	v_cmp_le_f64_e64 s[0:1], v[6:7], v[10:11]
	s_and_saveexec_b64 s[4:5], s[0:1]
	s_cbranch_execz .LBB24_41
; %bb.37:
	s_mov_b64 s[0:1], exec
	s_brev_b32 s6, -2
.LBB24_38:                              ; =>This Inner Loop Header: Depth=1
	s_ff1_i32_b64 s7, s[0:1]
	v_readlane_b32 s16, v4, s7
	s_lshl_b64 s[10:11], 1, s7
	s_min_i32 s6, s6, s16
	s_andn2_b64 s[0:1], s[0:1], s[10:11]
	s_cmp_lg_u64 s[0:1], 0
	s_cbranch_scc1 .LBB24_38
; %bb.39:
	v_mbcnt_lo_u32_b32 v5, exec_lo, 0
	v_mbcnt_hi_u32_b32 v5, exec_hi, v5
	v_cmp_eq_u32_e64 s[0:1], 0, v5
	s_and_saveexec_b64 s[10:11], s[0:1]
	s_xor_b64 s[10:11], exec, s[10:11]
	s_cbranch_execz .LBB24_41
; %bb.40:
	v_mov_b32_e32 v5, 0
	v_mov_b32_e32 v8, s6
	global_atomic_smin v5, v8, s[14:15]
.LBB24_41:
	s_or_b64 exec, exec, s[4:5]
	v_xor_b32_e32 v5, 0x80000000, v7
	v_cmp_gt_f64_e64 s[0:1], 0, v[6:7]
	v_cndmask_b32_e64 v7, v7, v5, s[0:1]
	v_cndmask_b32_e64 v6, v6, v6, s[0:1]
	s_mov_b32 s0, 0
	s_brev_b32 s1, 8
	v_cmp_gt_f64_e64 s[0:1], s[0:1], v[6:7]
	v_cndmask_b32_e64 v5, 0, 1, s[0:1]
	v_lshlrev_b32_e32 v5, 8, v5
	v_ldexp_f64 v[6:7], v[6:7], v5
	v_rsq_f64_e32 v[8:9], v[6:7]
	v_mov_b32_e32 v5, 0xffffff80
	v_cndmask_b32_e64 v5, 0, v5, s[0:1]
	v_mul_f64 v[10:11], v[6:7], v[8:9]
	v_mul_f64 v[8:9], v[8:9], 0.5
	v_fma_f64 v[12:13], -v[8:9], v[10:11], 0.5
	v_fmac_f64_e32 v[10:11], v[10:11], v[12:13]
	v_fma_f64 v[14:15], -v[10:11], v[10:11], v[6:7]
	v_fmac_f64_e32 v[8:9], v[8:9], v[12:13]
	v_fmac_f64_e32 v[10:11], v[14:15], v[8:9]
	v_fma_f64 v[12:13], -v[10:11], v[10:11], v[6:7]
	v_fmac_f64_e32 v[10:11], v[12:13], v[8:9]
	v_ldexp_f64 v[8:9], v[10:11], v5
	v_mov_b32_e32 v5, 0x260
	v_cmp_class_f64_e64 s[0:1], v[6:7], v5
	v_cndmask_b32_e64 v7, v9, v7, s[0:1]
	v_cndmask_b32_e64 v6, v8, v6, s[0:1]
	v_cmp_eq_f64_e64 s[0:1], 0, v[6:7]
	global_store_dwordx2 v[0:1], v[6:7], off
	s_and_b64 exec, exec, s[0:1]
	s_cbranch_execz .LBB24_46
; %bb.42:
	s_mov_b64 s[0:1], exec
	s_brev_b32 s4, -2
.LBB24_43:                              ; =>This Inner Loop Header: Depth=1
	s_ff1_i32_b64 s5, s[0:1]
	v_readlane_b32 s10, v4, s5
	s_lshl_b64 s[6:7], 1, s5
	s_min_i32 s4, s4, s10
	s_andn2_b64 s[0:1], s[0:1], s[6:7]
	s_cmp_lg_u64 s[0:1], 0
	s_cbranch_scc1 .LBB24_43
; %bb.44:
	v_mbcnt_lo_u32_b32 v0, exec_lo, 0
	v_mbcnt_hi_u32_b32 v0, exec_hi, v0
	v_cmp_eq_u32_e64 s[0:1], 0, v0
	s_and_saveexec_b64 s[6:7], s[0:1]
	s_xor_b64 s[6:7], exec, s[6:7]
	s_cbranch_execz .LBB24_46
; %bb.45:
	v_mov_b32_e32 v0, 0
	v_mov_b32_e32 v1, s4
	global_atomic_smin v0, v1, s[12:13]
.LBB24_46:
	s_or_b64 exec, exec, s[2:3]
	s_and_b64 exec, exec, vcc
	s_cbranch_execz .LBB24_48
; %bb.47:
	v_mov_b32_e32 v1, s9
	v_add_co_u32_e32 v0, vcc, s8, v2
	v_addc_co_u32_e32 v1, vcc, v1, v3, vcc
	v_mov_b32_e32 v2, 1
	s_waitcnt vmcnt(0)
	global_store_dword v[0:1], v2, off
.LBB24_48:
	s_endpgm
	.section	.rodata,"a",@progbits
	.p2align	6, 0x0
	.amdhsa_kernel _ZN9rocsparseL18csric0_hash_kernelILj256ELj64ELj16EdEEviPKiS2_PT2_S2_PiS2_S5_S5_d21rocsparse_index_base_
		.amdhsa_group_segment_fixed_size 32768
		.amdhsa_private_segment_fixed_size 0
		.amdhsa_kernarg_size 84
		.amdhsa_user_sgpr_count 6
		.amdhsa_user_sgpr_private_segment_buffer 1
		.amdhsa_user_sgpr_dispatch_ptr 0
		.amdhsa_user_sgpr_queue_ptr 0
		.amdhsa_user_sgpr_kernarg_segment_ptr 1
		.amdhsa_user_sgpr_dispatch_id 0
		.amdhsa_user_sgpr_flat_scratch_init 0
		.amdhsa_user_sgpr_kernarg_preload_length 0
		.amdhsa_user_sgpr_kernarg_preload_offset 0
		.amdhsa_user_sgpr_private_segment_size 0
		.amdhsa_uses_dynamic_stack 0
		.amdhsa_system_sgpr_private_segment_wavefront_offset 0
		.amdhsa_system_sgpr_workgroup_id_x 1
		.amdhsa_system_sgpr_workgroup_id_y 0
		.amdhsa_system_sgpr_workgroup_id_z 0
		.amdhsa_system_sgpr_workgroup_info 0
		.amdhsa_system_vgpr_workitem_id 0
		.amdhsa_next_free_vgpr 38
		.amdhsa_next_free_sgpr 46
		.amdhsa_accum_offset 40
		.amdhsa_reserve_vcc 1
		.amdhsa_reserve_flat_scratch 0
		.amdhsa_float_round_mode_32 0
		.amdhsa_float_round_mode_16_64 0
		.amdhsa_float_denorm_mode_32 3
		.amdhsa_float_denorm_mode_16_64 3
		.amdhsa_dx10_clamp 1
		.amdhsa_ieee_mode 1
		.amdhsa_fp16_overflow 0
		.amdhsa_tg_split 0
		.amdhsa_exception_fp_ieee_invalid_op 0
		.amdhsa_exception_fp_denorm_src 0
		.amdhsa_exception_fp_ieee_div_zero 0
		.amdhsa_exception_fp_ieee_overflow 0
		.amdhsa_exception_fp_ieee_underflow 0
		.amdhsa_exception_fp_ieee_inexact 0
		.amdhsa_exception_int_div_zero 0
	.end_amdhsa_kernel
	.section	.text._ZN9rocsparseL18csric0_hash_kernelILj256ELj64ELj16EdEEviPKiS2_PT2_S2_PiS2_S5_S5_d21rocsparse_index_base_,"axG",@progbits,_ZN9rocsparseL18csric0_hash_kernelILj256ELj64ELj16EdEEviPKiS2_PT2_S2_PiS2_S5_S5_d21rocsparse_index_base_,comdat
.Lfunc_end24:
	.size	_ZN9rocsparseL18csric0_hash_kernelILj256ELj64ELj16EdEEviPKiS2_PT2_S2_PiS2_S5_S5_d21rocsparse_index_base_, .Lfunc_end24-_ZN9rocsparseL18csric0_hash_kernelILj256ELj64ELj16EdEEviPKiS2_PT2_S2_PiS2_S5_S5_d21rocsparse_index_base_
                                        ; -- End function
	.section	.AMDGPU.csdata,"",@progbits
; Kernel info:
; codeLenInByte = 2120
; NumSgprs: 50
; NumVgprs: 38
; NumAgprs: 0
; TotalNumVgprs: 38
; ScratchSize: 0
; MemoryBound: 0
; FloatMode: 240
; IeeeMode: 1
; LDSByteSize: 32768 bytes/workgroup (compile time only)
; SGPRBlocks: 6
; VGPRBlocks: 4
; NumSGPRsForWavesPerEU: 50
; NumVGPRsForWavesPerEU: 38
; AccumOffset: 40
; Occupancy: 2
; WaveLimiterHint : 1
; COMPUTE_PGM_RSRC2:SCRATCH_EN: 0
; COMPUTE_PGM_RSRC2:USER_SGPR: 6
; COMPUTE_PGM_RSRC2:TRAP_HANDLER: 0
; COMPUTE_PGM_RSRC2:TGID_X_EN: 1
; COMPUTE_PGM_RSRC2:TGID_Y_EN: 0
; COMPUTE_PGM_RSRC2:TGID_Z_EN: 0
; COMPUTE_PGM_RSRC2:TIDIG_COMP_CNT: 0
; COMPUTE_PGM_RSRC3_GFX90A:ACCUM_OFFSET: 9
; COMPUTE_PGM_RSRC3_GFX90A:TG_SPLIT: 0
	.section	.text._ZN9rocsparseL23csric0_binsearch_kernelILj256ELj64ELb0EdEEviPKiS2_PT2_S2_PiS2_S5_S5_d21rocsparse_index_base_,"axG",@progbits,_ZN9rocsparseL23csric0_binsearch_kernelILj256ELj64ELb0EdEEviPKiS2_PT2_S2_PiS2_S5_S5_d21rocsparse_index_base_,comdat
	.globl	_ZN9rocsparseL23csric0_binsearch_kernelILj256ELj64ELb0EdEEviPKiS2_PT2_S2_PiS2_S5_S5_d21rocsparse_index_base_ ; -- Begin function _ZN9rocsparseL23csric0_binsearch_kernelILj256ELj64ELb0EdEEviPKiS2_PT2_S2_PiS2_S5_S5_d21rocsparse_index_base_
	.p2align	8
	.type	_ZN9rocsparseL23csric0_binsearch_kernelILj256ELj64ELb0EdEEviPKiS2_PT2_S2_PiS2_S5_S5_d21rocsparse_index_base_,@function
_ZN9rocsparseL23csric0_binsearch_kernelILj256ELj64ELb0EdEEviPKiS2_PT2_S2_PiS2_S5_S5_d21rocsparse_index_base_: ; @_ZN9rocsparseL23csric0_binsearch_kernelILj256ELj64ELb0EdEEviPKiS2_PT2_S2_PiS2_S5_S5_d21rocsparse_index_base_
; %bb.0:
	s_load_dword s0, s[4:5], 0x0
	s_lshl_b32 s1, s6, 2
	v_lshrrev_b32_e32 v1, 6, v0
	s_and_b32 s1, s1, 0x3fffffc
	v_or_b32_e32 v1, s1, v1
	s_waitcnt lgkmcnt(0)
	v_cmp_gt_i32_e32 vcc, s0, v1
	s_and_saveexec_b64 s[0:1], vcc
	s_cbranch_execz .LBB25_47
; %bb.1:
	s_load_dwordx8 s[8:15], s[4:5], 0x18
	v_lshlrev_b32_e32 v1, 2, v1
	s_waitcnt lgkmcnt(0)
	global_load_dword v4, v1, s[14:15]
	s_load_dwordx2 s[14:15], s[4:5], 0x8
	v_mov_b32_e32 v1, s11
	s_waitcnt lgkmcnt(0)
	v_mov_b32_e32 v6, s15
	s_waitcnt vmcnt(0)
	v_ashrrev_i32_e32 v5, 31, v4
	v_lshlrev_b64 v[2:3], 2, v[4:5]
	v_add_co_u32_e32 v10, vcc, s10, v2
	v_addc_co_u32_e32 v11, vcc, v1, v3, vcc
	v_add_co_u32_e32 v8, vcc, s14, v2
	v_addc_co_u32_e32 v9, vcc, v6, v3, vcc
	global_load_dword v1, v[8:9], off
	global_load_dword v6, v[10:11], off
	s_load_dword s33, s[4:5], 0x50
	s_load_dwordx4 s[16:19], s[4:5], 0x38
	s_load_dwordx2 s[6:7], s[4:5], 0x48
	v_and_b32_e32 v5, 63, v0
	s_waitcnt vmcnt(1) lgkmcnt(0)
	v_subrev_u32_e32 v7, s33, v1
	s_waitcnt vmcnt(0)
	v_cmp_lt_i32_e32 vcc, v7, v6
	v_pk_mov_b32 v[0:1], 0, 0
	s_and_saveexec_b64 s[20:21], vcc
	s_cbranch_execz .LBB25_34
; %bb.2:
	global_load_dword v8, v[8:9], off offset:4
	s_load_dwordx2 s[22:23], s[4:5], 0x10
	v_add_u32_e32 v24, -1, v6
	v_cmp_eq_u32_e64 s[0:1], 0, v5
	v_subrev_u32_e32 v25, s33, v5
	v_cmp_eq_u32_e64 s[2:3], 63, v5
	s_mov_b64 s[24:25], 0
	v_pk_mov_b32 v[0:1], 0, 0
	v_mov_b32_e32 v26, s9
	v_mov_b32_e32 v27, s15
	;; [unrolled: 1-line block ×5, first 2 shown]
	s_waitcnt lgkmcnt(0)
	v_mov_b32_e32 v31, s23
	s_waitcnt vmcnt(0)
	v_xad_u32 v32, s33, -1, v8
	v_mov_b32_e32 v8, v7
	s_branch .LBB25_5
.LBB25_3:                               ;   in Loop: Header=BB25_5 Depth=1
	s_or_b64 exec, exec, s[28:29]
.LBB25_4:                               ;   in Loop: Header=BB25_5 Depth=1
	s_or_b64 exec, exec, s[26:27]
	v_add_u32_e32 v8, 1, v8
	v_cmp_ge_i32_e32 vcc, v8, v6
	s_xor_b64 s[4:5], s[4:5], -1
	s_or_b64 s[4:5], s[4:5], vcc
	s_and_b64 s[4:5], exec, s[4:5]
	s_or_b64 s[24:25], s[4:5], s[24:25]
	s_andn2_b64 exec, exec, s[24:25]
	s_cbranch_execz .LBB25_33
.LBB25_5:                               ; =>This Loop Header: Depth=1
                                        ;     Child Loop BB25_7 Depth 2
                                        ;     Child Loop BB25_11 Depth 2
	;; [unrolled: 1-line block ×4, first 2 shown]
                                        ;       Child Loop BB25_26 Depth 3
	v_ashrrev_i32_e32 v9, 31, v8
	v_lshlrev_b64 v[10:11], 2, v[8:9]
	v_add_co_u32_e32 v10, vcc, s22, v10
	v_addc_co_u32_e32 v11, vcc, v31, v11, vcc
	global_load_dword v18, v[10:11], off
	v_lshlrev_b64 v[10:11], 3, v[8:9]
	v_add_co_u32_e32 v10, vcc, s8, v10
	v_addc_co_u32_e32 v11, vcc, v26, v11, vcc
	global_load_dwordx2 v[12:13], v[10:11], off
	s_waitcnt vmcnt(1)
	v_subrev_u32_e32 v14, s33, v18
	v_ashrrev_i32_e32 v15, 31, v14
	v_lshlrev_b64 v[14:15], 2, v[14:15]
	v_add_co_u32_e32 v20, vcc, s14, v14
	v_addc_co_u32_e32 v21, vcc, v27, v15, vcc
	v_add_co_u32_e32 v22, vcc, s10, v14
	v_addc_co_u32_e32 v23, vcc, v28, v15, vcc
	;; [unrolled: 2-line block ×3, first 2 shown]
	global_load_dword v9, v[20:21], off
	global_load_dword v16, v[22:23], off
	global_load_dword v17, v[14:15], off glc
	s_waitcnt vmcnt(0)
	v_cmp_eq_u32_e32 vcc, 0, v17
	s_and_saveexec_b64 s[4:5], vcc
	s_cbranch_execz .LBB25_8
; %bb.6:                                ;   in Loop: Header=BB25_5 Depth=1
	s_mov_b64 s[26:27], 0
.LBB25_7:                               ;   Parent Loop BB25_5 Depth=1
                                        ; =>  This Inner Loop Header: Depth=2
	global_load_dword v17, v[14:15], off glc
	s_waitcnt vmcnt(0)
	v_cmp_ne_u32_e32 vcc, 0, v17
	s_or_b64 s[26:27], vcc, s[26:27]
	s_andn2_b64 exec, exec, s[26:27]
	s_cbranch_execnz .LBB25_7
.LBB25_8:                               ;   in Loop: Header=BB25_5 Depth=1
	s_or_b64 exec, exec, s[4:5]
	v_cmp_eq_u32_e32 vcc, -1, v16
	v_cndmask_b32_e32 v16, v16, v24, vcc
	v_ashrrev_i32_e32 v17, 31, v16
	v_lshlrev_b64 v[14:15], 3, v[16:17]
	v_add_co_u32_e32 v14, vcc, s8, v14
	v_addc_co_u32_e32 v15, vcc, v26, v15, vcc
	buffer_wbinvl1_vol
	global_load_dwordx2 v[14:15], v[14:15], off
	s_waitcnt vmcnt(0)
	v_cmp_neq_f64_e64 s[4:5], 0, v[14:15]
	v_cmp_eq_f64_e32 vcc, 0, v[14:15]
	s_and_saveexec_b64 s[26:27], vcc
	s_xor_b64 s[26:27], exec, s[26:27]
	s_cbranch_execz .LBB25_15
; %bb.9:                                ;   in Loop: Header=BB25_5 Depth=1
	s_and_saveexec_b64 s[28:29], s[0:1]
	s_cbranch_execz .LBB25_14
; %bb.10:                               ;   in Loop: Header=BB25_5 Depth=1
	s_mov_b64 s[30:31], exec
	s_brev_b32 s11, -2
.LBB25_11:                              ;   Parent Loop BB25_5 Depth=1
                                        ; =>  This Inner Loop Header: Depth=2
	s_ff1_i32_b64 s15, s[30:31]
	v_readlane_b32 s36, v18, s15
	s_lshl_b64 s[34:35], 1, s15
	s_min_i32 s11, s11, s36
	s_andn2_b64 s[30:31], s[30:31], s[34:35]
	s_cmp_lg_u64 s[30:31], 0
	s_cbranch_scc1 .LBB25_11
; %bb.12:                               ;   in Loop: Header=BB25_5 Depth=1
	v_mbcnt_lo_u32_b32 v9, exec_lo, 0
	v_mbcnt_hi_u32_b32 v9, exec_hi, v9
	v_cmp_eq_u32_e32 vcc, 0, v9
	s_and_saveexec_b64 s[30:31], vcc
	s_xor_b64 s[30:31], exec, s[30:31]
	s_cbranch_execz .LBB25_14
; %bb.13:                               ;   in Loop: Header=BB25_5 Depth=1
	v_mov_b32_e32 v9, s11
	global_atomic_smin v30, v9, s[16:17]
.LBB25_14:                              ;   in Loop: Header=BB25_5 Depth=1
	s_or_b64 exec, exec, s[28:29]
                                        ; implicit-def: $vgpr14_vgpr15
                                        ; implicit-def: $vgpr12_vgpr13
                                        ; implicit-def: $vgpr10_vgpr11
                                        ; implicit-def: $vgpr9
                                        ; implicit-def: $vgpr16
                                        ; implicit-def: $vgpr18
.LBB25_15:                              ;   in Loop: Header=BB25_5 Depth=1
	s_andn2_saveexec_b64 s[26:27], s[26:27]
	s_cbranch_execz .LBB25_4
; %bb.16:                               ;   in Loop: Header=BB25_5 Depth=1
	v_cmp_ge_f64_e32 vcc, s[6:7], v[14:15]
	s_and_b64 s[30:31], s[0:1], vcc
	s_and_saveexec_b64 s[28:29], s[30:31]
	s_cbranch_execz .LBB25_21
; %bb.17:                               ;   in Loop: Header=BB25_5 Depth=1
	s_mov_b64 s[30:31], exec
	s_brev_b32 s11, -2
.LBB25_18:                              ;   Parent Loop BB25_5 Depth=1
                                        ; =>  This Inner Loop Header: Depth=2
	s_ff1_i32_b64 s15, s[30:31]
	v_readlane_b32 s36, v18, s15
	s_lshl_b64 s[34:35], 1, s15
	s_min_i32 s11, s11, s36
	s_andn2_b64 s[30:31], s[30:31], s[34:35]
	s_cmp_lg_u64 s[30:31], 0
	s_cbranch_scc1 .LBB25_18
; %bb.19:                               ;   in Loop: Header=BB25_5 Depth=1
	v_mbcnt_lo_u32_b32 v17, exec_lo, 0
	v_mbcnt_hi_u32_b32 v17, exec_hi, v17
	v_cmp_eq_u32_e32 vcc, 0, v17
	s_and_saveexec_b64 s[30:31], vcc
	s_xor_b64 s[30:31], exec, s[30:31]
	s_cbranch_execz .LBB25_21
; %bb.20:                               ;   in Loop: Header=BB25_5 Depth=1
	v_mov_b32_e32 v17, s11
	global_atomic_smin v30, v17, s[18:19]
.LBB25_21:                              ;   in Loop: Header=BB25_5 Depth=1
	s_or_b64 exec, exec, s[28:29]
	v_add_u32_e32 v20, v25, v9
	v_cmp_lt_i32_e32 vcc, v20, v16
	v_pk_mov_b32 v[18:19], 0, 0
	s_and_saveexec_b64 s[28:29], vcc
	s_cbranch_execz .LBB25_31
; %bb.22:                               ;   in Loop: Header=BB25_5 Depth=1
	s_mov_b64 s[30:31], 0
	v_pk_mov_b32 v[18:19], 0, 0
	v_mov_b32_e32 v9, v7
	s_branch .LBB25_24
.LBB25_23:                              ;   in Loop: Header=BB25_24 Depth=2
	s_or_b64 exec, exec, s[34:35]
	v_add_u32_e32 v20, 64, v20
	v_cmp_ge_i32_e32 vcc, v20, v16
	s_or_b64 s[30:31], vcc, s[30:31]
	s_andn2_b64 exec, exec, s[30:31]
	s_cbranch_execz .LBB25_30
.LBB25_24:                              ;   Parent Loop BB25_5 Depth=1
                                        ; =>  This Loop Header: Depth=2
                                        ;       Child Loop BB25_26 Depth 3
	v_ashrrev_i32_e32 v21, 31, v20
	v_add_u32_e32 v17, v9, v32
	v_lshlrev_b64 v[22:23], 2, v[20:21]
	v_mov_b32_e32 v33, s23
	v_add_co_u32_e32 v34, vcc, s22, v22
	v_ashrrev_i32_e32 v22, 1, v17
	v_addc_co_u32_e32 v35, vcc, v33, v23, vcc
	v_ashrrev_i32_e32 v23, 31, v22
	v_lshlrev_b64 v[36:37], 2, v[22:23]
	v_add_co_u32_e32 v36, vcc, s22, v36
	v_addc_co_u32_e32 v37, vcc, v33, v37, vcc
	global_load_dword v17, v[34:35], off
	global_load_dword v33, v[36:37], off
	v_cmp_lt_i32_e32 vcc, v9, v32
	s_and_saveexec_b64 s[34:35], vcc
	s_cbranch_execz .LBB25_28
; %bb.25:                               ;   in Loop: Header=BB25_24 Depth=2
	s_mov_b64 s[36:37], 0
	v_mov_b32_e32 v34, v32
.LBB25_26:                              ;   Parent Loop BB25_5 Depth=1
                                        ;     Parent Loop BB25_24 Depth=2
                                        ; =>    This Inner Loop Header: Depth=3
	v_add_u32_e32 v23, 1, v22
	s_waitcnt vmcnt(0)
	v_cmp_lt_i32_e32 vcc, v33, v17
	v_cndmask_b32_e32 v9, v9, v23, vcc
	v_cndmask_b32_e32 v34, v22, v34, vcc
	v_add_u32_e32 v22, v34, v9
	v_ashrrev_i32_e32 v22, 1, v22
	v_ashrrev_i32_e32 v23, 31, v22
	v_lshlrev_b64 v[36:37], 2, v[22:23]
	v_mov_b32_e32 v33, s23
	v_add_co_u32_e32 v36, vcc, s22, v36
	v_addc_co_u32_e32 v37, vcc, v33, v37, vcc
	global_load_dword v33, v[36:37], off
	v_cmp_ge_i32_e32 vcc, v9, v34
	s_or_b64 s[36:37], vcc, s[36:37]
	s_andn2_b64 exec, exec, s[36:37]
	s_cbranch_execnz .LBB25_26
; %bb.27:                               ;   in Loop: Header=BB25_24 Depth=2
	s_or_b64 exec, exec, s[36:37]
.LBB25_28:                              ;   in Loop: Header=BB25_24 Depth=2
	s_or_b64 exec, exec, s[34:35]
	s_waitcnt vmcnt(0)
	v_cmp_eq_u32_e32 vcc, v33, v17
	s_and_saveexec_b64 s[34:35], vcc
	s_cbranch_execz .LBB25_23
; %bb.29:                               ;   in Loop: Header=BB25_24 Depth=2
	v_lshlrev_b64 v[22:23], 3, v[22:23]
	v_mov_b32_e32 v17, s9
	v_add_co_u32_e32 v22, vcc, s8, v22
	v_addc_co_u32_e32 v23, vcc, v17, v23, vcc
	v_lshlrev_b64 v[34:35], 3, v[20:21]
	v_add_co_u32_e32 v34, vcc, s8, v34
	v_addc_co_u32_e32 v35, vcc, v17, v35, vcc
	global_load_dwordx2 v[36:37], v[34:35], off
	global_load_dwordx2 v[38:39], v[22:23], off
	s_waitcnt vmcnt(0)
	v_fmac_f64_e32 v[18:19], v[36:37], v[38:39]
	s_branch .LBB25_23
.LBB25_30:                              ;   in Loop: Header=BB25_5 Depth=1
	s_or_b64 exec, exec, s[30:31]
.LBB25_31:                              ;   in Loop: Header=BB25_5 Depth=1
	s_or_b64 exec, exec, s[28:29]
	v_mov_b32_dpp v16, v18 row_shr:1 row_mask:0xf bank_mask:0xf
	v_mov_b32_dpp v17, v19 row_shr:1 row_mask:0xf bank_mask:0xf
	v_add_f64 v[16:17], v[18:19], v[16:17]
	s_nop 1
	v_mov_b32_dpp v18, v16 row_shr:2 row_mask:0xf bank_mask:0xf
	v_mov_b32_dpp v19, v17 row_shr:2 row_mask:0xf bank_mask:0xf
	v_add_f64 v[16:17], v[16:17], v[18:19]
	s_nop 1
	;; [unrolled: 4-line block ×4, first 2 shown]
	v_mov_b32_dpp v18, v16 row_bcast:15 row_mask:0xa bank_mask:0xf
	v_mov_b32_dpp v19, v17 row_bcast:15 row_mask:0xa bank_mask:0xf
	v_add_f64 v[16:17], v[16:17], v[18:19]
	s_nop 1
	v_mov_b32_dpp v18, v16 row_bcast:31 row_mask:0xc bank_mask:0xf
	v_mov_b32_dpp v19, v17 row_bcast:31 row_mask:0xc bank_mask:0xf
	s_and_saveexec_b64 s[28:29], s[2:3]
	s_cbranch_execz .LBB25_3
; %bb.32:                               ;   in Loop: Header=BB25_5 Depth=1
	v_div_scale_f64 v[20:21], s[30:31], v[14:15], v[14:15], 1.0
	v_rcp_f64_e32 v[22:23], v[20:21]
	v_div_scale_f64 v[34:35], vcc, 1.0, v[14:15], 1.0
	v_add_f64 v[16:17], v[16:17], v[18:19]
	v_fma_f64 v[36:37], -v[20:21], v[22:23], 1.0
	v_fmac_f64_e32 v[22:23], v[22:23], v[36:37]
	v_fma_f64 v[36:37], -v[20:21], v[22:23], 1.0
	v_fmac_f64_e32 v[22:23], v[22:23], v[36:37]
	v_mul_f64 v[36:37], v[34:35], v[22:23]
	v_fma_f64 v[20:21], -v[20:21], v[36:37], v[34:35]
	v_div_fmas_f64 v[20:21], v[20:21], v[22:23], v[36:37]
	v_div_fixup_f64 v[14:15], v[20:21], v[14:15], 1.0
	v_add_f64 v[12:13], v[12:13], -v[16:17]
	v_mul_f64 v[12:13], v[14:15], v[12:13]
	v_fmac_f64_e32 v[0:1], v[12:13], v[12:13]
	global_store_dwordx2 v[10:11], v[12:13], off
	s_branch .LBB25_3
.LBB25_33:
	s_or_b64 exec, exec, s[24:25]
.LBB25_34:
	s_or_b64 exec, exec, s[20:21]
	v_cmp_eq_u32_e32 vcc, 63, v5
	v_cmp_lt_i32_e64 s[0:1], -1, v6
	s_and_b64 s[0:1], vcc, s[0:1]
	s_and_saveexec_b64 s[2:3], s[0:1]
	s_cbranch_execz .LBB25_45
; %bb.35:
	v_mov_b32_e32 v7, 0
	v_lshlrev_b64 v[6:7], 3, v[6:7]
	v_mov_b32_e32 v5, s9
	v_add_co_u32_e64 v6, s[0:1], s8, v6
	v_addc_co_u32_e64 v7, s[0:1], v5, v7, s[0:1]
	global_load_dwordx2 v[8:9], v[6:7], off
	v_mul_f64 v[10:11], s[6:7], s[6:7]
	v_add_u32_e32 v4, s33, v4
	s_waitcnt vmcnt(0)
	v_add_f64 v[0:1], v[8:9], -v[0:1]
	v_cmp_le_f64_e64 s[0:1], v[0:1], v[10:11]
	s_and_saveexec_b64 s[4:5], s[0:1]
	s_cbranch_execz .LBB25_40
; %bb.36:
	s_mov_b64 s[0:1], exec
	s_brev_b32 s6, -2
.LBB25_37:                              ; =>This Inner Loop Header: Depth=1
	s_ff1_i32_b64 s7, s[0:1]
	v_readlane_b32 s10, v4, s7
	s_lshl_b64 s[8:9], 1, s7
	s_min_i32 s6, s6, s10
	s_andn2_b64 s[0:1], s[0:1], s[8:9]
	s_cmp_lg_u64 s[0:1], 0
	s_cbranch_scc1 .LBB25_37
; %bb.38:
	v_mbcnt_lo_u32_b32 v5, exec_lo, 0
	v_mbcnt_hi_u32_b32 v5, exec_hi, v5
	v_cmp_eq_u32_e64 s[0:1], 0, v5
	s_and_saveexec_b64 s[8:9], s[0:1]
	s_xor_b64 s[8:9], exec, s[8:9]
	s_cbranch_execz .LBB25_40
; %bb.39:
	v_mov_b32_e32 v5, 0
	v_mov_b32_e32 v8, s6
	global_atomic_smin v5, v8, s[18:19]
.LBB25_40:
	s_or_b64 exec, exec, s[4:5]
	v_xor_b32_e32 v5, 0x80000000, v1
	v_cmp_gt_f64_e64 s[0:1], 0, v[0:1]
	v_cndmask_b32_e64 v1, v1, v5, s[0:1]
	v_cndmask_b32_e64 v0, v0, v0, s[0:1]
	s_mov_b32 s0, 0
	s_brev_b32 s1, 8
	v_cmp_gt_f64_e64 s[0:1], s[0:1], v[0:1]
	v_cndmask_b32_e64 v5, 0, 1, s[0:1]
	v_lshlrev_b32_e32 v5, 8, v5
	v_ldexp_f64 v[0:1], v[0:1], v5
	v_rsq_f64_e32 v[8:9], v[0:1]
	v_mov_b32_e32 v5, 0xffffff80
	v_cndmask_b32_e64 v5, 0, v5, s[0:1]
	v_mul_f64 v[10:11], v[0:1], v[8:9]
	v_mul_f64 v[8:9], v[8:9], 0.5
	v_fma_f64 v[12:13], -v[8:9], v[10:11], 0.5
	v_fmac_f64_e32 v[10:11], v[10:11], v[12:13]
	v_fma_f64 v[14:15], -v[10:11], v[10:11], v[0:1]
	v_fmac_f64_e32 v[8:9], v[8:9], v[12:13]
	v_fmac_f64_e32 v[10:11], v[14:15], v[8:9]
	v_fma_f64 v[12:13], -v[10:11], v[10:11], v[0:1]
	v_fmac_f64_e32 v[10:11], v[12:13], v[8:9]
	v_ldexp_f64 v[8:9], v[10:11], v5
	v_mov_b32_e32 v5, 0x260
	v_cmp_class_f64_e64 s[0:1], v[0:1], v5
	v_cndmask_b32_e64 v1, v9, v1, s[0:1]
	v_cndmask_b32_e64 v0, v8, v0, s[0:1]
	v_cmp_eq_f64_e64 s[0:1], 0, v[0:1]
	global_store_dwordx2 v[6:7], v[0:1], off
	s_and_b64 exec, exec, s[0:1]
	s_cbranch_execz .LBB25_45
; %bb.41:
	s_mov_b64 s[0:1], exec
	s_brev_b32 s4, -2
.LBB25_42:                              ; =>This Inner Loop Header: Depth=1
	s_ff1_i32_b64 s5, s[0:1]
	v_readlane_b32 s8, v4, s5
	s_lshl_b64 s[6:7], 1, s5
	s_min_i32 s4, s4, s8
	s_andn2_b64 s[0:1], s[0:1], s[6:7]
	s_cmp_lg_u64 s[0:1], 0
	s_cbranch_scc1 .LBB25_42
; %bb.43:
	v_mbcnt_lo_u32_b32 v0, exec_lo, 0
	v_mbcnt_hi_u32_b32 v0, exec_hi, v0
	v_cmp_eq_u32_e64 s[0:1], 0, v0
	s_and_saveexec_b64 s[6:7], s[0:1]
	s_xor_b64 s[6:7], exec, s[6:7]
	s_cbranch_execz .LBB25_45
; %bb.44:
	v_mov_b32_e32 v0, 0
	v_mov_b32_e32 v1, s4
	global_atomic_smin v0, v1, s[16:17]
.LBB25_45:
	s_or_b64 exec, exec, s[2:3]
	s_and_b64 exec, exec, vcc
	s_cbranch_execz .LBB25_47
; %bb.46:
	v_mov_b32_e32 v1, s13
	v_add_co_u32_e32 v0, vcc, s12, v2
	v_addc_co_u32_e32 v1, vcc, v1, v3, vcc
	v_mov_b32_e32 v2, 1
	s_waitcnt vmcnt(0)
	global_store_dword v[0:1], v2, off
.LBB25_47:
	s_endpgm
	.section	.rodata,"a",@progbits
	.p2align	6, 0x0
	.amdhsa_kernel _ZN9rocsparseL23csric0_binsearch_kernelILj256ELj64ELb0EdEEviPKiS2_PT2_S2_PiS2_S5_S5_d21rocsparse_index_base_
		.amdhsa_group_segment_fixed_size 0
		.amdhsa_private_segment_fixed_size 0
		.amdhsa_kernarg_size 84
		.amdhsa_user_sgpr_count 6
		.amdhsa_user_sgpr_private_segment_buffer 1
		.amdhsa_user_sgpr_dispatch_ptr 0
		.amdhsa_user_sgpr_queue_ptr 0
		.amdhsa_user_sgpr_kernarg_segment_ptr 1
		.amdhsa_user_sgpr_dispatch_id 0
		.amdhsa_user_sgpr_flat_scratch_init 0
		.amdhsa_user_sgpr_kernarg_preload_length 0
		.amdhsa_user_sgpr_kernarg_preload_offset 0
		.amdhsa_user_sgpr_private_segment_size 0
		.amdhsa_uses_dynamic_stack 0
		.amdhsa_system_sgpr_private_segment_wavefront_offset 0
		.amdhsa_system_sgpr_workgroup_id_x 1
		.amdhsa_system_sgpr_workgroup_id_y 0
		.amdhsa_system_sgpr_workgroup_id_z 0
		.amdhsa_system_sgpr_workgroup_info 0
		.amdhsa_system_vgpr_workitem_id 0
		.amdhsa_next_free_vgpr 40
		.amdhsa_next_free_sgpr 38
		.amdhsa_accum_offset 40
		.amdhsa_reserve_vcc 1
		.amdhsa_reserve_flat_scratch 0
		.amdhsa_float_round_mode_32 0
		.amdhsa_float_round_mode_16_64 0
		.amdhsa_float_denorm_mode_32 3
		.amdhsa_float_denorm_mode_16_64 3
		.amdhsa_dx10_clamp 1
		.amdhsa_ieee_mode 1
		.amdhsa_fp16_overflow 0
		.amdhsa_tg_split 0
		.amdhsa_exception_fp_ieee_invalid_op 0
		.amdhsa_exception_fp_denorm_src 0
		.amdhsa_exception_fp_ieee_div_zero 0
		.amdhsa_exception_fp_ieee_overflow 0
		.amdhsa_exception_fp_ieee_underflow 0
		.amdhsa_exception_fp_ieee_inexact 0
		.amdhsa_exception_int_div_zero 0
	.end_amdhsa_kernel
	.section	.text._ZN9rocsparseL23csric0_binsearch_kernelILj256ELj64ELb0EdEEviPKiS2_PT2_S2_PiS2_S5_S5_d21rocsparse_index_base_,"axG",@progbits,_ZN9rocsparseL23csric0_binsearch_kernelILj256ELj64ELb0EdEEviPKiS2_PT2_S2_PiS2_S5_S5_d21rocsparse_index_base_,comdat
.Lfunc_end25:
	.size	_ZN9rocsparseL23csric0_binsearch_kernelILj256ELj64ELb0EdEEviPKiS2_PT2_S2_PiS2_S5_S5_d21rocsparse_index_base_, .Lfunc_end25-_ZN9rocsparseL23csric0_binsearch_kernelILj256ELj64ELb0EdEEviPKiS2_PT2_S2_PiS2_S5_S5_d21rocsparse_index_base_
                                        ; -- End function
	.section	.AMDGPU.csdata,"",@progbits
; Kernel info:
; codeLenInByte = 1948
; NumSgprs: 42
; NumVgprs: 40
; NumAgprs: 0
; TotalNumVgprs: 40
; ScratchSize: 0
; MemoryBound: 1
; FloatMode: 240
; IeeeMode: 1
; LDSByteSize: 0 bytes/workgroup (compile time only)
; SGPRBlocks: 5
; VGPRBlocks: 4
; NumSGPRsForWavesPerEU: 42
; NumVGPRsForWavesPerEU: 40
; AccumOffset: 40
; Occupancy: 8
; WaveLimiterHint : 1
; COMPUTE_PGM_RSRC2:SCRATCH_EN: 0
; COMPUTE_PGM_RSRC2:USER_SGPR: 6
; COMPUTE_PGM_RSRC2:TRAP_HANDLER: 0
; COMPUTE_PGM_RSRC2:TGID_X_EN: 1
; COMPUTE_PGM_RSRC2:TGID_Y_EN: 0
; COMPUTE_PGM_RSRC2:TGID_Z_EN: 0
; COMPUTE_PGM_RSRC2:TIDIG_COMP_CNT: 0
; COMPUTE_PGM_RSRC3_GFX90A:ACCUM_OFFSET: 9
; COMPUTE_PGM_RSRC3_GFX90A:TG_SPLIT: 0
	.section	.text._ZN9rocsparseL23csric0_binsearch_kernelILj256ELj64ELb1E21rocsparse_complex_numIfEEEviPKiS4_PT2_S4_PiS4_S7_S7_d21rocsparse_index_base_,"axG",@progbits,_ZN9rocsparseL23csric0_binsearch_kernelILj256ELj64ELb1E21rocsparse_complex_numIfEEEviPKiS4_PT2_S4_PiS4_S7_S7_d21rocsparse_index_base_,comdat
	.globl	_ZN9rocsparseL23csric0_binsearch_kernelILj256ELj64ELb1E21rocsparse_complex_numIfEEEviPKiS4_PT2_S4_PiS4_S7_S7_d21rocsparse_index_base_ ; -- Begin function _ZN9rocsparseL23csric0_binsearch_kernelILj256ELj64ELb1E21rocsparse_complex_numIfEEEviPKiS4_PT2_S4_PiS4_S7_S7_d21rocsparse_index_base_
	.p2align	8
	.type	_ZN9rocsparseL23csric0_binsearch_kernelILj256ELj64ELb1E21rocsparse_complex_numIfEEEviPKiS4_PT2_S4_PiS4_S7_S7_d21rocsparse_index_base_,@function
_ZN9rocsparseL23csric0_binsearch_kernelILj256ELj64ELb1E21rocsparse_complex_numIfEEEviPKiS4_PT2_S4_PiS4_S7_S7_d21rocsparse_index_base_: ; @_ZN9rocsparseL23csric0_binsearch_kernelILj256ELj64ELb1E21rocsparse_complex_numIfEEEviPKiS4_PT2_S4_PiS4_S7_S7_d21rocsparse_index_base_
; %bb.0:
	s_load_dword s0, s[4:5], 0x0
	s_lshl_b32 s1, s6, 2
	v_lshrrev_b32_e32 v1, 6, v0
	s_and_b32 s1, s1, 0x3fffffc
	v_or_b32_e32 v1, s1, v1
	s_waitcnt lgkmcnt(0)
	v_cmp_gt_i32_e32 vcc, s0, v1
	s_and_saveexec_b64 s[0:1], vcc
	s_cbranch_execz .LBB26_56
; %bb.1:
	s_load_dwordx8 s[8:15], s[4:5], 0x18
	v_lshlrev_b32_e32 v1, 2, v1
	s_load_dwordx2 s[20:21], s[4:5], 0x8
	s_waitcnt lgkmcnt(0)
	global_load_dword v4, v1, s[14:15]
	v_mov_b32_e32 v1, s11
	v_mov_b32_e32 v6, s21
	s_waitcnt vmcnt(0)
	v_ashrrev_i32_e32 v5, 31, v4
	v_lshlrev_b64 v[2:3], 2, v[4:5]
	v_add_co_u32_e32 v10, vcc, s10, v2
	v_addc_co_u32_e32 v11, vcc, v1, v3, vcc
	v_add_co_u32_e32 v8, vcc, s20, v2
	v_addc_co_u32_e32 v9, vcc, v6, v3, vcc
	global_load_dword v7, v[8:9], off
	global_load_dword v6, v[10:11], off
	s_load_dword s33, s[4:5], 0x50
	s_load_dwordx4 s[16:19], s[4:5], 0x38
	s_load_dwordx2 s[14:15], s[4:5], 0x48
	v_mov_b32_e32 v1, 0
	v_and_b32_e32 v5, 63, v0
	v_mov_b32_e32 v0, v1
	s_waitcnt vmcnt(1) lgkmcnt(0)
	v_subrev_u32_e32 v7, s33, v7
	s_waitcnt vmcnt(0)
	v_cmp_lt_i32_e32 vcc, v7, v6
	s_and_saveexec_b64 s[22:23], vcc
	s_cbranch_execz .LBB26_37
; %bb.2:
	global_load_dword v1, v[8:9], off offset:4
	s_load_dwordx2 s[24:25], s[4:5], 0x10
	v_mov_b32_e32 v0, 0
	v_add_u32_e32 v24, -1, v6
	v_cmp_eq_u32_e64 s[0:1], 0, v5
	v_subrev_u32_e32 v25, s33, v5
	v_cmp_eq_u32_e64 s[2:3], 63, v5
	s_mov_b64 s[26:27], 0
	v_mov_b32_e32 v26, s9
	v_mov_b32_e32 v27, s21
	v_mov_b32_e32 v28, s11
	v_mov_b32_e32 v29, s13
	v_mov_b32_e32 v30, 0
	v_mov_b32_e32 v8, v7
	s_waitcnt lgkmcnt(0)
	v_mov_b32_e32 v31, s25
	s_waitcnt vmcnt(0)
	v_xad_u32 v32, s33, -1, v1
	v_mov_b32_e32 v1, v0
	s_branch .LBB26_5
.LBB26_3:                               ;   in Loop: Header=BB26_5 Depth=1
	s_or_b64 exec, exec, s[28:29]
.LBB26_4:                               ;   in Loop: Header=BB26_5 Depth=1
	s_or_b64 exec, exec, s[4:5]
	v_add_u32_e32 v8, 1, v8
	v_cmp_ge_i32_e32 vcc, v8, v6
	s_or_b64 s[4:5], s[6:7], vcc
	s_and_b64 s[4:5], exec, s[4:5]
	s_or_b64 s[26:27], s[4:5], s[26:27]
	s_andn2_b64 exec, exec, s[26:27]
	s_cbranch_execz .LBB26_36
.LBB26_5:                               ; =>This Loop Header: Depth=1
                                        ;     Child Loop BB26_8 Depth 2
                                        ;       Child Loop BB26_9 Depth 3
                                        ;     Child Loop BB26_13 Depth 2
                                        ;     Child Loop BB26_21 Depth 2
	;; [unrolled: 1-line block ×3, first 2 shown]
                                        ;       Child Loop BB26_29 Depth 3
	v_ashrrev_i32_e32 v9, 31, v8
	v_lshlrev_b64 v[10:11], 2, v[8:9]
	v_add_co_u32_e32 v10, vcc, s24, v10
	v_addc_co_u32_e32 v11, vcc, v31, v11, vcc
	global_load_dword v18, v[10:11], off
	v_lshlrev_b64 v[10:11], 3, v[8:9]
	v_add_co_u32_e32 v10, vcc, s8, v10
	v_addc_co_u32_e32 v11, vcc, v26, v11, vcc
	global_load_dwordx2 v[12:13], v[10:11], off
	s_waitcnt vmcnt(1)
	v_subrev_u32_e32 v14, s33, v18
	v_ashrrev_i32_e32 v15, 31, v14
	v_lshlrev_b64 v[14:15], 2, v[14:15]
	v_add_co_u32_e32 v20, vcc, s20, v14
	v_addc_co_u32_e32 v21, vcc, v27, v15, vcc
	v_add_co_u32_e32 v22, vcc, s10, v14
	v_addc_co_u32_e32 v23, vcc, v28, v15, vcc
	;; [unrolled: 2-line block ×3, first 2 shown]
	global_load_dword v9, v[20:21], off
	global_load_dword v16, v[22:23], off
	global_load_dword v17, v[14:15], off glc
	s_waitcnt vmcnt(0)
	v_cmp_eq_u32_e32 vcc, 0, v17
	s_and_saveexec_b64 s[4:5], vcc
	s_cbranch_execz .LBB26_10
; %bb.6:                                ;   in Loop: Header=BB26_5 Depth=1
	s_mov_b32 s11, 0
	s_mov_b64 s[6:7], 0
	s_branch .LBB26_8
.LBB26_7:                               ;   in Loop: Header=BB26_8 Depth=2
	global_load_dword v17, v[14:15], off glc
	s_cmpk_lt_u32 s11, 0xf43
	s_cselect_b64 s[28:29], -1, 0
	s_cmp_lg_u64 s[28:29], 0
	s_addc_u32 s11, s11, 0
	s_waitcnt vmcnt(0)
	v_cmp_ne_u32_e32 vcc, 0, v17
	s_or_b64 s[6:7], vcc, s[6:7]
	s_andn2_b64 exec, exec, s[6:7]
	s_cbranch_execz .LBB26_10
.LBB26_8:                               ;   Parent Loop BB26_5 Depth=1
                                        ; =>  This Loop Header: Depth=2
                                        ;       Child Loop BB26_9 Depth 3
	s_cmp_eq_u32 s11, 0
	s_mov_b32 s21, s11
	s_cbranch_scc1 .LBB26_7
.LBB26_9:                               ;   Parent Loop BB26_5 Depth=1
                                        ;     Parent Loop BB26_8 Depth=2
                                        ; =>    This Inner Loop Header: Depth=3
	s_add_i32 s21, s21, -1
	s_cmp_eq_u32 s21, 0
	s_sleep 1
	s_cbranch_scc0 .LBB26_9
	s_branch .LBB26_7
.LBB26_10:                              ;   in Loop: Header=BB26_5 Depth=1
	s_or_b64 exec, exec, s[4:5]
	v_cmp_eq_u32_e32 vcc, -1, v16
	v_cndmask_b32_e32 v16, v16, v24, vcc
	v_ashrrev_i32_e32 v17, 31, v16
	v_lshlrev_b64 v[14:15], 3, v[16:17]
	v_add_co_u32_e32 v14, vcc, s8, v14
	v_addc_co_u32_e32 v15, vcc, v26, v15, vcc
	buffer_wbinvl1_vol
	global_load_dwordx2 v[14:15], v[14:15], off
	s_waitcnt vmcnt(0)
	v_cmp_neq_f32_e64 s[4:5], 0, v14
	v_cmp_neq_f32_e64 s[6:7], 0, v15
	s_or_b64 s[4:5], s[4:5], s[6:7]
	v_cmp_eq_f32_e32 vcc, 0, v15
	s_xor_b64 s[6:7], s[4:5], -1
	s_and_saveexec_b64 s[4:5], s[6:7]
	s_xor_b64 s[28:29], exec, s[4:5]
	s_cbranch_execz .LBB26_17
; %bb.11:                               ;   in Loop: Header=BB26_5 Depth=1
	s_and_saveexec_b64 s[30:31], s[0:1]
	s_cbranch_execz .LBB26_16
; %bb.12:                               ;   in Loop: Header=BB26_5 Depth=1
	s_mov_b64 s[4:5], exec
	s_brev_b32 s11, -2
.LBB26_13:                              ;   Parent Loop BB26_5 Depth=1
                                        ; =>  This Inner Loop Header: Depth=2
	s_ff1_i32_b64 s21, s[4:5]
	v_readlane_b32 s36, v18, s21
	s_lshl_b64 s[34:35], 1, s21
	s_min_i32 s11, s11, s36
	s_andn2_b64 s[4:5], s[4:5], s[34:35]
	s_cmp_lg_u64 s[4:5], 0
	s_cbranch_scc1 .LBB26_13
; %bb.14:                               ;   in Loop: Header=BB26_5 Depth=1
	v_mbcnt_lo_u32_b32 v9, exec_lo, 0
	v_mbcnt_hi_u32_b32 v9, exec_hi, v9
	v_cmp_eq_u32_e64 s[4:5], 0, v9
	s_and_saveexec_b64 s[34:35], s[4:5]
	s_xor_b64 s[34:35], exec, s[34:35]
	s_cbranch_execz .LBB26_16
; %bb.15:                               ;   in Loop: Header=BB26_5 Depth=1
	v_mov_b32_e32 v9, s11
	global_atomic_smin v30, v9, s[16:17]
.LBB26_16:                              ;   in Loop: Header=BB26_5 Depth=1
	s_or_b64 exec, exec, s[30:31]
                                        ; implicit-def: $vgpr14_vgpr15
                                        ; implicit-def: $vgpr12_vgpr13
                                        ; implicit-def: $vgpr10_vgpr11
                                        ; implicit-def: $vgpr9
                                        ; implicit-def: $vgpr16
                                        ; implicit-def: $vgpr18
.LBB26_17:                              ;   in Loop: Header=BB26_5 Depth=1
	s_andn2_saveexec_b64 s[4:5], s[28:29]
	s_cbranch_execz .LBB26_4
; %bb.18:                               ;   in Loop: Header=BB26_5 Depth=1
	s_and_saveexec_b64 s[28:29], vcc
	s_cbranch_execz .LBB26_24
; %bb.19:                               ;   in Loop: Header=BB26_5 Depth=1
	v_cvt_f64_f32_e32 v[20:21], v14
	v_cmp_ge_f64_e32 vcc, s[14:15], v[20:21]
	s_and_b64 s[30:31], s[0:1], vcc
	s_and_b64 exec, exec, s[30:31]
	s_cbranch_execz .LBB26_24
; %bb.20:                               ;   in Loop: Header=BB26_5 Depth=1
	s_mov_b64 s[30:31], exec
	s_brev_b32 s11, -2
.LBB26_21:                              ;   Parent Loop BB26_5 Depth=1
                                        ; =>  This Inner Loop Header: Depth=2
	s_ff1_i32_b64 s21, s[30:31]
	v_readlane_b32 s36, v18, s21
	s_lshl_b64 s[34:35], 1, s21
	s_min_i32 s11, s11, s36
	s_andn2_b64 s[30:31], s[30:31], s[34:35]
	s_cmp_lg_u64 s[30:31], 0
	s_cbranch_scc1 .LBB26_21
; %bb.22:                               ;   in Loop: Header=BB26_5 Depth=1
	v_mbcnt_lo_u32_b32 v17, exec_lo, 0
	v_mbcnt_hi_u32_b32 v17, exec_hi, v17
	v_cmp_eq_u32_e32 vcc, 0, v17
	s_and_saveexec_b64 s[30:31], vcc
	s_xor_b64 s[30:31], exec, s[30:31]
	s_cbranch_execz .LBB26_24
; %bb.23:                               ;   in Loop: Header=BB26_5 Depth=1
	v_mov_b32_e32 v17, s11
	global_atomic_smin v30, v17, s[18:19]
.LBB26_24:                              ;   in Loop: Header=BB26_5 Depth=1
	s_or_b64 exec, exec, s[28:29]
	v_add_u32_e32 v20, v25, v9
	v_mov_b32_e32 v19, 0
	v_cmp_lt_i32_e32 vcc, v20, v16
	v_mov_b32_e32 v18, v19
	s_and_saveexec_b64 s[28:29], vcc
	s_cbranch_execz .LBB26_34
; %bb.25:                               ;   in Loop: Header=BB26_5 Depth=1
	v_mov_b32_e32 v18, 0
	s_mov_b64 s[30:31], 0
	v_mov_b32_e32 v9, v7
	v_mov_b32_e32 v19, v18
	s_branch .LBB26_27
.LBB26_26:                              ;   in Loop: Header=BB26_27 Depth=2
	s_or_b64 exec, exec, s[34:35]
	v_add_u32_e32 v20, 64, v20
	v_cmp_ge_i32_e32 vcc, v20, v16
	s_or_b64 s[30:31], vcc, s[30:31]
	s_andn2_b64 exec, exec, s[30:31]
	s_cbranch_execz .LBB26_33
.LBB26_27:                              ;   Parent Loop BB26_5 Depth=1
                                        ; =>  This Loop Header: Depth=2
                                        ;       Child Loop BB26_29 Depth 3
	v_ashrrev_i32_e32 v21, 31, v20
	v_add_u32_e32 v17, v9, v32
	v_lshlrev_b64 v[22:23], 2, v[20:21]
	v_mov_b32_e32 v33, s25
	v_add_co_u32_e32 v34, vcc, s24, v22
	v_ashrrev_i32_e32 v22, 1, v17
	v_addc_co_u32_e32 v35, vcc, v33, v23, vcc
	v_ashrrev_i32_e32 v23, 31, v22
	v_lshlrev_b64 v[36:37], 2, v[22:23]
	v_add_co_u32_e32 v36, vcc, s24, v36
	v_addc_co_u32_e32 v37, vcc, v33, v37, vcc
	global_load_dword v17, v[34:35], off
	global_load_dword v33, v[36:37], off
	v_cmp_lt_i32_e32 vcc, v9, v32
	s_and_saveexec_b64 s[34:35], vcc
	s_cbranch_execz .LBB26_31
; %bb.28:                               ;   in Loop: Header=BB26_27 Depth=2
	s_mov_b64 s[36:37], 0
	v_mov_b32_e32 v34, v32
.LBB26_29:                              ;   Parent Loop BB26_5 Depth=1
                                        ;     Parent Loop BB26_27 Depth=2
                                        ; =>    This Inner Loop Header: Depth=3
	v_add_u32_e32 v23, 1, v22
	s_waitcnt vmcnt(0)
	v_cmp_lt_i32_e32 vcc, v33, v17
	v_cndmask_b32_e32 v34, v22, v34, vcc
	v_cndmask_b32_e32 v9, v9, v23, vcc
	v_add_u32_e32 v22, v34, v9
	v_ashrrev_i32_e32 v22, 1, v22
	v_ashrrev_i32_e32 v23, 31, v22
	v_lshlrev_b64 v[36:37], 2, v[22:23]
	v_mov_b32_e32 v33, s25
	v_add_co_u32_e32 v36, vcc, s24, v36
	v_addc_co_u32_e32 v37, vcc, v33, v37, vcc
	global_load_dword v33, v[36:37], off
	v_cmp_ge_i32_e32 vcc, v9, v34
	s_or_b64 s[36:37], vcc, s[36:37]
	s_andn2_b64 exec, exec, s[36:37]
	s_cbranch_execnz .LBB26_29
; %bb.30:                               ;   in Loop: Header=BB26_27 Depth=2
	s_or_b64 exec, exec, s[36:37]
.LBB26_31:                              ;   in Loop: Header=BB26_27 Depth=2
	s_or_b64 exec, exec, s[34:35]
	s_waitcnt vmcnt(0)
	v_cmp_eq_u32_e32 vcc, v33, v17
	s_and_saveexec_b64 s[34:35], vcc
	s_cbranch_execz .LBB26_26
; %bb.32:                               ;   in Loop: Header=BB26_27 Depth=2
	v_lshlrev_b64 v[34:35], 3, v[20:21]
	v_mov_b32_e32 v17, s9
	v_add_co_u32_e32 v34, vcc, s8, v34
	v_addc_co_u32_e32 v35, vcc, v17, v35, vcc
	v_lshlrev_b64 v[22:23], 3, v[22:23]
	v_add_co_u32_e32 v22, vcc, s8, v22
	v_addc_co_u32_e32 v23, vcc, v17, v23, vcc
	global_load_dwordx2 v[36:37], v[22:23], off
	global_load_dwordx2 v[38:39], v[34:35], off
	s_waitcnt vmcnt(0)
	v_pk_fma_f32 v[18:19], v[38:39], v[36:37], v[18:19] op_sel:[1,0,0] op_sel_hi:[0,0,1]
	v_pk_fma_f32 v[18:19], v[38:39], v[36:37], v[18:19] op_sel:[0,1,0] neg_lo:[0,1,0]
	s_branch .LBB26_26
.LBB26_33:                              ;   in Loop: Header=BB26_5 Depth=1
	s_or_b64 exec, exec, s[30:31]
.LBB26_34:                              ;   in Loop: Header=BB26_5 Depth=1
	s_or_b64 exec, exec, s[28:29]
	v_mov_b32_e32 v16, v19
	v_mov_b32_e32 v17, v18
	v_mov_b32_dpp v20, v19 row_shr:1 row_mask:0xf bank_mask:0xf
	v_mov_b32_dpp v21, v18 row_shr:1 row_mask:0xf bank_mask:0xf
	v_pk_add_f32 v[16:17], v[16:17], v[20:21]
	s_nop 1
	v_mov_b32_dpp v18, v16 row_shr:2 row_mask:0xf bank_mask:0xf
	v_mov_b32_dpp v19, v17 row_shr:2 row_mask:0xf bank_mask:0xf
	v_pk_add_f32 v[16:17], v[16:17], v[18:19]
	s_nop 1
	;; [unrolled: 4-line block ×4, first 2 shown]
	v_mov_b32_dpp v18, v16 row_bcast:15 row_mask:0xa bank_mask:0xf
	v_mov_b32_dpp v19, v17 row_bcast:15 row_mask:0xa bank_mask:0xf
	v_pk_add_f32 v[16:17], v[16:17], v[18:19]
	s_nop 1
	v_mov_b32_dpp v18, v16 row_bcast:31 row_mask:0xc bank_mask:0xf
	v_mov_b32_dpp v19, v17 row_bcast:31 row_mask:0xc bank_mask:0xf
	s_and_saveexec_b64 s[28:29], s[2:3]
	s_cbranch_execz .LBB26_3
; %bb.35:                               ;   in Loop: Header=BB26_5 Depth=1
	v_mul_f32_e32 v9, v15, v15
	v_fmac_f32_e32 v9, v14, v14
	v_div_scale_f32 v20, s[30:31], v9, v9, 1.0
	v_rcp_f32_e32 v21, v20
	v_div_scale_f32 v22, vcc, 1.0, v9, 1.0
	v_pk_add_f32 v[16:17], v[16:17], v[18:19]
	v_fma_f32 v23, -v20, v21, 1.0
	v_fmac_f32_e32 v21, v23, v21
	v_mul_f32_e32 v23, v22, v21
	v_fma_f32 v33, -v20, v23, v22
	v_fmac_f32_e32 v23, v33, v21
	v_fma_f32 v20, -v20, v23, v22
	v_div_fmas_f32 v20, v20, v21, v23
	v_div_fixup_f32 v9, v20, v9, 1.0
	v_fma_f32 v20, 0, v15, v14
	v_fma_f32 v14, v14, 0, -v15
	v_mul_f32_e32 v14, v14, v9
	v_pk_add_f32 v[12:13], v[12:13], v[16:17] neg_lo:[0,1] neg_hi:[0,1]
	v_mul_f32_e32 v20, v20, v9
	v_pk_mul_f32 v[14:15], v[14:15], v[12:13] op_sel:[0,1] op_sel_hi:[0,0] neg_lo:[0,1]
	v_pk_fma_f32 v[12:13], v[12:13], v[20:21], v[14:15] op_sel_hi:[1,0,1]
	v_xor_b32_e32 v14, 0x80000000, v13
	v_pk_fma_f32 v[0:1], v[12:13], v[12:13], v[0:1] op_sel:[1,0,0] op_sel_hi:[0,0,1]
	v_mov_b32_e32 v15, v13
	v_pk_fma_f32 v[0:1], v[12:13], v[14:15], v[0:1]
	global_store_dwordx2 v[10:11], v[12:13], off
	s_branch .LBB26_3
.LBB26_36:
	s_or_b64 exec, exec, s[26:27]
.LBB26_37:
	s_or_b64 exec, exec, s[22:23]
	v_cmp_eq_u32_e64 s[0:1], 63, v5
	v_cmp_lt_i32_e32 vcc, -1, v6
	s_and_b64 s[2:3], s[0:1], vcc
	s_and_saveexec_b64 s[6:7], s[2:3]
	s_cbranch_execz .LBB26_54
; %bb.38:
	v_mov_b32_e32 v7, 0
	v_lshlrev_b64 v[6:7], 3, v[6:7]
	v_mov_b32_e32 v5, s9
	v_add_co_u32_e32 v6, vcc, s8, v6
	v_addc_co_u32_e32 v7, vcc, v5, v7, vcc
	global_load_dwordx2 v[8:9], v[6:7], off
	v_mul_f64 v[10:11], s[14:15], s[14:15]
	s_waitcnt vmcnt(0)
	v_pk_add_f32 v[0:1], v[8:9], v[0:1] op_sel:[1,0] op_sel_hi:[0,1] neg_lo:[0,1] neg_hi:[0,1]
	v_cvt_f64_f32_e32 v[8:9], v1
	v_cmp_eq_f32_e64 s[2:3], 0, v0
	v_cmp_ge_f64_e64 s[4:5], v[10:11], v[8:9]
	v_cmp_neq_f32_e32 vcc, 0, v0
	s_and_b64 s[2:3], s[2:3], s[4:5]
	s_and_saveexec_b64 s[4:5], s[2:3]
	s_cbranch_execz .LBB26_43
; %bb.39:
	s_mov_b64 s[2:3], exec
	v_add_u32_e32 v5, s33, v4
	s_brev_b32 s8, -2
.LBB26_40:                              ; =>This Inner Loop Header: Depth=1
	s_ff1_i32_b64 s9, s[2:3]
	v_readlane_b32 s14, v5, s9
	s_lshl_b64 s[10:11], 1, s9
	s_min_i32 s8, s8, s14
	s_andn2_b64 s[2:3], s[2:3], s[10:11]
	s_cmp_lg_u64 s[2:3], 0
	s_cbranch_scc1 .LBB26_40
; %bb.41:
	v_mbcnt_lo_u32_b32 v5, exec_lo, 0
	v_mbcnt_hi_u32_b32 v5, exec_hi, v5
	v_cmp_eq_u32_e64 s[2:3], 0, v5
	s_and_saveexec_b64 s[10:11], s[2:3]
	s_xor_b64 s[10:11], exec, s[10:11]
	s_cbranch_execz .LBB26_43
; %bb.42:
	v_mov_b32_e32 v5, 0
	v_mov_b32_e32 v8, s8
	global_atomic_smin v5, v8, s[18:19]
.LBB26_43:
	s_or_b64 exec, exec, s[4:5]
	v_cmp_gt_f32_e64 s[2:3], 0, v0
	v_cndmask_b32_e64 v0, v0, -v0, s[2:3]
	v_cmp_gt_f32_e64 s[2:3], 0, v1
	v_cndmask_b32_e64 v1, v1, -v1, s[2:3]
	v_cmp_ngt_f32_e64 s[2:3], v1, v0
                                        ; implicit-def: $vgpr5
	s_and_saveexec_b64 s[4:5], s[2:3]
	s_xor_b64 s[4:5], exec, s[4:5]
	s_cbranch_execz .LBB26_47
; %bb.44:
	v_mov_b32_e32 v5, 0
	s_and_saveexec_b64 s[8:9], vcc
	s_cbranch_execz .LBB26_46
; %bb.45:
	v_div_scale_f32 v5, s[2:3], v0, v0, v1
	v_rcp_f32_e32 v8, v5
	v_div_scale_f32 v9, vcc, v1, v0, v1
	s_mov_b32 s2, 0xf800000
	v_fma_f32 v10, -v5, v8, 1.0
	v_fmac_f32_e32 v8, v10, v8
	v_mul_f32_e32 v10, v9, v8
	v_fma_f32 v11, -v5, v10, v9
	v_fmac_f32_e32 v10, v11, v8
	v_fma_f32 v5, -v5, v10, v9
	v_div_fmas_f32 v5, v5, v8, v10
	v_div_fixup_f32 v1, v5, v0, v1
	v_fma_f32 v1, v1, v1, 1.0
	v_mul_f32_e32 v5, 0x4f800000, v1
	v_cmp_gt_f32_e32 vcc, s2, v1
	v_cndmask_b32_e32 v1, v1, v5, vcc
	v_sqrt_f32_e32 v5, v1
	v_add_u32_e32 v8, -1, v5
	v_fma_f32 v9, -v8, v5, v1
	v_cmp_ge_f32_e64 s[2:3], 0, v9
	v_add_u32_e32 v9, 1, v5
	v_cndmask_b32_e64 v8, v5, v8, s[2:3]
	v_fma_f32 v5, -v9, v5, v1
	v_cmp_lt_f32_e64 s[2:3], 0, v5
	v_cndmask_b32_e64 v5, v8, v9, s[2:3]
	v_mul_f32_e32 v8, 0x37800000, v5
	v_cndmask_b32_e32 v5, v5, v8, vcc
	v_mov_b32_e32 v8, 0x260
	v_cmp_class_f32_e32 vcc, v1, v8
	v_cndmask_b32_e32 v1, v5, v1, vcc
	v_mul_f32_e32 v5, v0, v1
.LBB26_46:
	s_or_b64 exec, exec, s[8:9]
                                        ; implicit-def: $vgpr1
                                        ; implicit-def: $vgpr0
.LBB26_47:
	s_andn2_saveexec_b64 s[4:5], s[4:5]
	s_cbranch_execz .LBB26_49
; %bb.48:
	v_div_scale_f32 v5, s[2:3], v1, v1, v0
	v_rcp_f32_e32 v8, v5
	v_div_scale_f32 v9, vcc, v0, v1, v0
	s_mov_b32 s2, 0xf800000
	v_fma_f32 v10, -v5, v8, 1.0
	v_fmac_f32_e32 v8, v10, v8
	v_mul_f32_e32 v10, v9, v8
	v_fma_f32 v11, -v5, v10, v9
	v_fmac_f32_e32 v10, v11, v8
	v_fma_f32 v5, -v5, v10, v9
	v_div_fmas_f32 v5, v5, v8, v10
	v_div_fixup_f32 v0, v5, v1, v0
	v_fma_f32 v0, v0, v0, 1.0
	v_mul_f32_e32 v5, 0x4f800000, v0
	v_cmp_gt_f32_e32 vcc, s2, v0
	v_cndmask_b32_e32 v0, v0, v5, vcc
	v_sqrt_f32_e32 v5, v0
	v_add_u32_e32 v8, -1, v5
	v_fma_f32 v9, -v8, v5, v0
	v_cmp_ge_f32_e64 s[2:3], 0, v9
	v_add_u32_e32 v9, 1, v5
	v_cndmask_b32_e64 v8, v5, v8, s[2:3]
	v_fma_f32 v5, -v9, v5, v0
	v_cmp_lt_f32_e64 s[2:3], 0, v5
	v_cndmask_b32_e64 v5, v8, v9, s[2:3]
	v_mul_f32_e32 v8, 0x37800000, v5
	v_cndmask_b32_e32 v5, v5, v8, vcc
	v_mov_b32_e32 v8, 0x260
	v_cmp_class_f32_e32 vcc, v0, v8
	v_cndmask_b32_e32 v0, v5, v0, vcc
	v_mul_f32_e32 v5, v1, v0
.LBB26_49:
	s_or_b64 exec, exec, s[4:5]
	s_mov_b32 s2, 0xf800000
	v_mul_f32_e32 v0, 0x4f800000, v5
	v_cmp_gt_f32_e32 vcc, s2, v5
	v_cndmask_b32_e32 v0, v5, v0, vcc
	v_sqrt_f32_e32 v1, v0
	v_add_u32_e32 v5, -1, v1
	v_fma_f32 v8, -v5, v1, v0
	v_cmp_ge_f32_e64 s[2:3], 0, v8
	v_add_u32_e32 v8, 1, v1
	v_cndmask_b32_e64 v5, v1, v5, s[2:3]
	v_fma_f32 v1, -v8, v1, v0
	v_cmp_lt_f32_e64 s[2:3], 0, v1
	v_cndmask_b32_e64 v1, v5, v8, s[2:3]
	v_mul_f32_e32 v5, 0x37800000, v1
	v_cndmask_b32_e32 v1, v1, v5, vcc
	v_mov_b32_e32 v5, 0x260
	v_cmp_class_f32_e32 vcc, v0, v5
	v_cndmask_b32_e32 v0, v1, v0, vcc
	v_mov_b32_e32 v1, 0
	v_cmp_eq_f32_e32 vcc, 0, v0
	global_store_dwordx2 v[6:7], v[0:1], off
	s_and_b64 exec, exec, vcc
	s_cbranch_execz .LBB26_54
; %bb.50:
	s_mov_b64 s[2:3], exec
	v_add_u32_e32 v0, s33, v4
	s_brev_b32 s4, -2
.LBB26_51:                              ; =>This Inner Loop Header: Depth=1
	s_ff1_i32_b64 s5, s[2:3]
	v_readlane_b32 s10, v0, s5
	s_lshl_b64 s[8:9], 1, s5
	s_min_i32 s4, s4, s10
	s_andn2_b64 s[2:3], s[2:3], s[8:9]
	s_cmp_lg_u64 s[2:3], 0
	s_cbranch_scc1 .LBB26_51
; %bb.52:
	v_mbcnt_lo_u32_b32 v0, exec_lo, 0
	v_mbcnt_hi_u32_b32 v0, exec_hi, v0
	v_cmp_eq_u32_e32 vcc, 0, v0
	s_and_saveexec_b64 s[2:3], vcc
	s_xor_b64 s[2:3], exec, s[2:3]
	s_cbranch_execz .LBB26_54
; %bb.53:
	v_mov_b32_e32 v0, 0
	v_mov_b32_e32 v1, s4
	global_atomic_smin v0, v1, s[16:17]
.LBB26_54:
	s_or_b64 exec, exec, s[6:7]
	s_and_b64 exec, exec, s[0:1]
	s_cbranch_execz .LBB26_56
; %bb.55:
	v_mov_b32_e32 v1, s13
	v_add_co_u32_e32 v0, vcc, s12, v2
	v_addc_co_u32_e32 v1, vcc, v1, v3, vcc
	v_mov_b32_e32 v2, 1
	s_waitcnt vmcnt(0)
	global_store_dword v[0:1], v2, off
.LBB26_56:
	s_endpgm
	.section	.rodata,"a",@progbits
	.p2align	6, 0x0
	.amdhsa_kernel _ZN9rocsparseL23csric0_binsearch_kernelILj256ELj64ELb1E21rocsparse_complex_numIfEEEviPKiS4_PT2_S4_PiS4_S7_S7_d21rocsparse_index_base_
		.amdhsa_group_segment_fixed_size 0
		.amdhsa_private_segment_fixed_size 0
		.amdhsa_kernarg_size 84
		.amdhsa_user_sgpr_count 6
		.amdhsa_user_sgpr_private_segment_buffer 1
		.amdhsa_user_sgpr_dispatch_ptr 0
		.amdhsa_user_sgpr_queue_ptr 0
		.amdhsa_user_sgpr_kernarg_segment_ptr 1
		.amdhsa_user_sgpr_dispatch_id 0
		.amdhsa_user_sgpr_flat_scratch_init 0
		.amdhsa_user_sgpr_kernarg_preload_length 0
		.amdhsa_user_sgpr_kernarg_preload_offset 0
		.amdhsa_user_sgpr_private_segment_size 0
		.amdhsa_uses_dynamic_stack 0
		.amdhsa_system_sgpr_private_segment_wavefront_offset 0
		.amdhsa_system_sgpr_workgroup_id_x 1
		.amdhsa_system_sgpr_workgroup_id_y 0
		.amdhsa_system_sgpr_workgroup_id_z 0
		.amdhsa_system_sgpr_workgroup_info 0
		.amdhsa_system_vgpr_workitem_id 0
		.amdhsa_next_free_vgpr 40
		.amdhsa_next_free_sgpr 38
		.amdhsa_accum_offset 40
		.amdhsa_reserve_vcc 1
		.amdhsa_reserve_flat_scratch 0
		.amdhsa_float_round_mode_32 0
		.amdhsa_float_round_mode_16_64 0
		.amdhsa_float_denorm_mode_32 3
		.amdhsa_float_denorm_mode_16_64 3
		.amdhsa_dx10_clamp 1
		.amdhsa_ieee_mode 1
		.amdhsa_fp16_overflow 0
		.amdhsa_tg_split 0
		.amdhsa_exception_fp_ieee_invalid_op 0
		.amdhsa_exception_fp_denorm_src 0
		.amdhsa_exception_fp_ieee_div_zero 0
		.amdhsa_exception_fp_ieee_overflow 0
		.amdhsa_exception_fp_ieee_underflow 0
		.amdhsa_exception_fp_ieee_inexact 0
		.amdhsa_exception_int_div_zero 0
	.end_amdhsa_kernel
	.section	.text._ZN9rocsparseL23csric0_binsearch_kernelILj256ELj64ELb1E21rocsparse_complex_numIfEEEviPKiS4_PT2_S4_PiS4_S7_S7_d21rocsparse_index_base_,"axG",@progbits,_ZN9rocsparseL23csric0_binsearch_kernelILj256ELj64ELb1E21rocsparse_complex_numIfEEEviPKiS4_PT2_S4_PiS4_S7_S7_d21rocsparse_index_base_,comdat
.Lfunc_end26:
	.size	_ZN9rocsparseL23csric0_binsearch_kernelILj256ELj64ELb1E21rocsparse_complex_numIfEEEviPKiS4_PT2_S4_PiS4_S7_S7_d21rocsparse_index_base_, .Lfunc_end26-_ZN9rocsparseL23csric0_binsearch_kernelILj256ELj64ELb1E21rocsparse_complex_numIfEEEviPKiS4_PT2_S4_PiS4_S7_S7_d21rocsparse_index_base_
                                        ; -- End function
	.section	.AMDGPU.csdata,"",@progbits
; Kernel info:
; codeLenInByte = 2520
; NumSgprs: 42
; NumVgprs: 40
; NumAgprs: 0
; TotalNumVgprs: 40
; ScratchSize: 0
; MemoryBound: 0
; FloatMode: 240
; IeeeMode: 1
; LDSByteSize: 0 bytes/workgroup (compile time only)
; SGPRBlocks: 5
; VGPRBlocks: 4
; NumSGPRsForWavesPerEU: 42
; NumVGPRsForWavesPerEU: 40
; AccumOffset: 40
; Occupancy: 8
; WaveLimiterHint : 1
; COMPUTE_PGM_RSRC2:SCRATCH_EN: 0
; COMPUTE_PGM_RSRC2:USER_SGPR: 6
; COMPUTE_PGM_RSRC2:TRAP_HANDLER: 0
; COMPUTE_PGM_RSRC2:TGID_X_EN: 1
; COMPUTE_PGM_RSRC2:TGID_Y_EN: 0
; COMPUTE_PGM_RSRC2:TGID_Z_EN: 0
; COMPUTE_PGM_RSRC2:TIDIG_COMP_CNT: 0
; COMPUTE_PGM_RSRC3_GFX90A:ACCUM_OFFSET: 9
; COMPUTE_PGM_RSRC3_GFX90A:TG_SPLIT: 0
	.section	.text._ZN9rocsparseL18csric0_hash_kernelILj256ELj32ELj1E21rocsparse_complex_numIfEEEviPKiS4_PT2_S4_PiS4_S7_S7_d21rocsparse_index_base_,"axG",@progbits,_ZN9rocsparseL18csric0_hash_kernelILj256ELj32ELj1E21rocsparse_complex_numIfEEEviPKiS4_PT2_S4_PiS4_S7_S7_d21rocsparse_index_base_,comdat
	.globl	_ZN9rocsparseL18csric0_hash_kernelILj256ELj32ELj1E21rocsparse_complex_numIfEEEviPKiS4_PT2_S4_PiS4_S7_S7_d21rocsparse_index_base_ ; -- Begin function _ZN9rocsparseL18csric0_hash_kernelILj256ELj32ELj1E21rocsparse_complex_numIfEEEviPKiS4_PT2_S4_PiS4_S7_S7_d21rocsparse_index_base_
	.p2align	8
	.type	_ZN9rocsparseL18csric0_hash_kernelILj256ELj32ELj1E21rocsparse_complex_numIfEEEviPKiS4_PT2_S4_PiS4_S7_S7_d21rocsparse_index_base_,@function
_ZN9rocsparseL18csric0_hash_kernelILj256ELj32ELj1E21rocsparse_complex_numIfEEEviPKiS4_PT2_S4_PiS4_S7_S7_d21rocsparse_index_base_: ; @_ZN9rocsparseL18csric0_hash_kernelILj256ELj32ELj1E21rocsparse_complex_numIfEEEviPKiS4_PT2_S4_PiS4_S7_S7_d21rocsparse_index_base_
; %bb.0:
	s_load_dword s0, s[4:5], 0x0
	s_lshl_b32 s1, s6, 3
	v_and_b32_e32 v5, 31, v0
	v_and_b32_e32 v6, 0xe0, v0
	v_mov_b32_e32 v1, 0x400
	v_lshrrev_b32_e32 v0, 5, v0
	s_and_b32 s1, s1, 0x7fffff8
	v_lshl_or_b32 v22, v6, 2, v1
	v_or_b32_e32 v0, s1, v0
	v_lshl_or_b32 v1, v5, 2, v22
	v_mov_b32_e32 v2, -1
	s_waitcnt lgkmcnt(0)
	v_cmp_gt_i32_e32 vcc, s0, v0
	ds_write_b32 v1, v2
	s_waitcnt lgkmcnt(0)
	s_and_saveexec_b64 s[0:1], vcc
	s_cbranch_execz .LBB27_52
; %bb.1:
	s_load_dwordx8 s[8:15], s[4:5], 0x28
	v_lshlrev_b32_e32 v0, 2, v0
	s_load_dwordx8 s[16:23], s[4:5], 0x8
	s_load_dword s33, s[4:5], 0x50
	s_waitcnt lgkmcnt(0)
	global_load_dword v2, v0, s[10:11]
	v_mov_b32_e32 v7, s17
	v_mov_b32_e32 v4, s23
	s_waitcnt vmcnt(0)
	v_ashrrev_i32_e32 v3, 31, v2
	v_lshlrev_b64 v[0:1], 2, v[2:3]
	v_add_co_u32_e32 v8, vcc, s16, v0
	v_addc_co_u32_e32 v9, vcc, v7, v1, vcc
	global_load_dwordx2 v[8:9], v[8:9], off
	v_add_co_u32_e32 v10, vcc, s22, v0
	v_addc_co_u32_e32 v11, vcc, v4, v1, vcc
	global_load_dword v4, v[10:11], off
	v_lshlrev_b32_e32 v3, 2, v6
	s_waitcnt vmcnt(1)
	v_subrev_u32_e32 v6, s33, v8
	v_subrev_u32_e32 v7, s33, v9
	v_add_u32_e32 v8, v6, v5
	v_cmp_lt_i32_e32 vcc, v8, v7
	s_and_saveexec_b64 s[0:1], vcc
	s_cbranch_execz .LBB27_11
; %bb.2:
	s_mov_b64 s[2:3], 0
	v_mov_b32_e32 v10, s19
	v_mov_b32_e32 v11, -1
	s_branch .LBB27_4
.LBB27_3:                               ;   in Loop: Header=BB27_4 Depth=1
	s_or_b64 exec, exec, s[6:7]
	v_add_u32_e32 v8, 32, v8
	v_cmp_ge_i32_e32 vcc, v8, v7
	s_or_b64 s[2:3], vcc, s[2:3]
	s_andn2_b64 exec, exec, s[2:3]
	s_cbranch_execz .LBB27_11
.LBB27_4:                               ; =>This Loop Header: Depth=1
                                        ;     Child Loop BB27_7 Depth 2
	v_ashrrev_i32_e32 v9, 31, v8
	v_lshlrev_b64 v[12:13], 2, v[8:9]
	v_add_co_u32_e32 v12, vcc, s18, v12
	v_addc_co_u32_e32 v13, vcc, v10, v13, vcc
	global_load_dword v9, v[12:13], off
	s_waitcnt vmcnt(0)
	v_mul_lo_u32 v12, v9, 7
	v_and_b32_e32 v12, 31, v12
	v_lshl_add_u32 v13, v12, 2, v22
	ds_read_b32 v14, v13
	s_waitcnt lgkmcnt(0)
	v_cmp_ne_u32_e32 vcc, v14, v9
	s_and_saveexec_b64 s[6:7], vcc
	s_cbranch_execz .LBB27_3
; %bb.5:                                ;   in Loop: Header=BB27_4 Depth=1
	s_mov_b64 s[10:11], 0
                                        ; implicit-def: $sgpr24_sgpr25
                                        ; implicit-def: $sgpr28_sgpr29
                                        ; implicit-def: $sgpr26_sgpr27
	s_branch .LBB27_7
.LBB27_6:                               ;   in Loop: Header=BB27_7 Depth=2
	s_or_b64 exec, exec, s[30:31]
	s_and_b64 s[30:31], exec, s[28:29]
	s_or_b64 s[10:11], s[30:31], s[10:11]
	s_andn2_b64 s[24:25], s[24:25], exec
	s_and_b64 s[30:31], s[26:27], exec
	s_or_b64 s[24:25], s[24:25], s[30:31]
	s_andn2_b64 exec, exec, s[10:11]
	s_cbranch_execz .LBB27_9
.LBB27_7:                               ;   Parent Loop BB27_4 Depth=1
                                        ; =>  This Inner Loop Header: Depth=2
	ds_cmpst_rtn_b32 v13, v13, v11, v9
	v_mov_b32_e32 v14, v12
	s_or_b64 s[26:27], s[26:27], exec
	s_or_b64 s[28:29], s[28:29], exec
                                        ; implicit-def: $vgpr12
	s_waitcnt lgkmcnt(0)
	v_cmp_ne_u32_e32 vcc, -1, v13
                                        ; implicit-def: $vgpr13
	s_and_saveexec_b64 s[30:31], vcc
	s_cbranch_execz .LBB27_6
; %bb.8:                                ;   in Loop: Header=BB27_7 Depth=2
	v_add_u32_e32 v12, 1, v14
	v_and_b32_e32 v12, 31, v12
	v_lshl_add_u32 v13, v12, 2, v22
	ds_read_b32 v15, v13
	s_andn2_b64 s[28:29], s[28:29], exec
	s_andn2_b64 s[26:27], s[26:27], exec
	s_waitcnt lgkmcnt(0)
	v_cmp_eq_u32_e32 vcc, v15, v9
	s_and_b64 s[34:35], vcc, exec
	s_or_b64 s[28:29], s[28:29], s[34:35]
	s_branch .LBB27_6
.LBB27_9:                               ;   in Loop: Header=BB27_4 Depth=1
	s_or_b64 exec, exec, s[10:11]
	s_and_saveexec_b64 s[10:11], s[24:25]
	s_xor_b64 s[10:11], exec, s[10:11]
	s_cbranch_execz .LBB27_3
; %bb.10:                               ;   in Loop: Header=BB27_4 Depth=1
	v_lshl_add_u32 v9, v14, 2, v3
	ds_write_b32 v9, v8
	s_branch .LBB27_3
.LBB27_11:
	s_or_b64 exec, exec, s[0:1]
	v_mov_b32_e32 v9, 0
	s_waitcnt vmcnt(0)
	v_cmp_lt_i32_e32 vcc, v6, v4
	v_mov_b32_e32 v8, v9
	s_waitcnt lgkmcnt(0)
	s_and_saveexec_b64 s[6:7], vcc
	s_cbranch_execz .LBB27_33
; %bb.12:
	v_mov_b32_e32 v8, 0
	v_add_u32_e32 v23, -1, v4
	v_subrev_u32_e32 v24, s33, v5
	v_cmp_eq_u32_e64 s[0:1], 31, v5
	s_mov_b64 s[10:11], 0
	v_mov_b32_e32 v25, s19
	v_mov_b32_e32 v26, s21
	;; [unrolled: 1-line block ×6, first 2 shown]
	s_branch .LBB27_15
.LBB27_13:                              ;   in Loop: Header=BB27_15 Depth=1
	s_or_b64 exec, exec, s[24:25]
	v_add_u32_e32 v6, 1, v6
	v_cmp_ge_i32_e32 vcc, v6, v4
	s_orn2_b64 s[24:25], vcc, exec
.LBB27_14:                              ;   in Loop: Header=BB27_15 Depth=1
	s_or_b64 exec, exec, s[2:3]
	s_and_b64 s[2:3], exec, s[24:25]
	s_or_b64 s[10:11], s[2:3], s[10:11]
	s_andn2_b64 exec, exec, s[10:11]
	s_cbranch_execz .LBB27_32
.LBB27_15:                              ; =>This Loop Header: Depth=1
                                        ;     Child Loop BB27_16 Depth 2
                                        ;     Child Loop BB27_22 Depth 2
                                        ;       Child Loop BB27_25 Depth 3
	v_ashrrev_i32_e32 v7, 31, v6
	v_lshlrev_b64 v[10:11], 2, v[6:7]
	v_add_co_u32_e32 v10, vcc, s18, v10
	v_addc_co_u32_e32 v11, vcc, v25, v11, vcc
	global_load_dword v14, v[10:11], off
	v_lshlrev_b64 v[10:11], 3, v[6:7]
	v_add_co_u32_e32 v10, vcc, s20, v10
	v_addc_co_u32_e32 v11, vcc, v26, v11, vcc
	global_load_dwordx2 v[12:13], v[10:11], off
	s_mov_b64 s[2:3], 0
	s_waitcnt vmcnt(1)
	v_subrev_u32_e32 v14, s33, v14
	v_ashrrev_i32_e32 v15, 31, v14
	v_lshlrev_b64 v[14:15], 2, v[14:15]
	v_add_co_u32_e32 v18, vcc, s16, v14
	v_addc_co_u32_e32 v19, vcc, v27, v15, vcc
	v_add_co_u32_e32 v20, vcc, s22, v14
	v_addc_co_u32_e32 v21, vcc, v28, v15, vcc
	global_load_dword v7, v[18:19], off
	global_load_dword v16, v[20:21], off
	v_add_co_u32_e32 v14, vcc, s8, v14
	v_addc_co_u32_e32 v15, vcc, v29, v15, vcc
.LBB27_16:                              ;   Parent Loop BB27_15 Depth=1
                                        ; =>  This Inner Loop Header: Depth=2
	global_load_dword v17, v[14:15], off glc
	s_waitcnt vmcnt(0)
	v_cmp_ne_u32_e32 vcc, 0, v17
	s_or_b64 s[2:3], vcc, s[2:3]
	s_andn2_b64 exec, exec, s[2:3]
	s_cbranch_execnz .LBB27_16
; %bb.17:                               ;   in Loop: Header=BB27_15 Depth=1
	s_or_b64 exec, exec, s[2:3]
	v_cmp_eq_u32_e32 vcc, -1, v16
	v_cndmask_b32_e32 v16, v16, v23, vcc
	v_ashrrev_i32_e32 v17, 31, v16
	v_lshlrev_b64 v[14:15], 3, v[16:17]
	v_add_co_u32_e32 v14, vcc, s20, v14
	v_addc_co_u32_e32 v15, vcc, v26, v15, vcc
	buffer_wbinvl1_vol
	global_load_dwordx2 v[14:15], v[14:15], off
	s_mov_b64 s[24:25], -1
	s_waitcnt vmcnt(0)
	v_cmp_neq_f32_e32 vcc, 0, v14
	v_cmp_neq_f32_e64 s[2:3], 0, v15
	s_or_b64 s[26:27], vcc, s[2:3]
	s_and_saveexec_b64 s[2:3], s[26:27]
	s_cbranch_execz .LBB27_14
; %bb.18:                               ;   in Loop: Header=BB27_15 Depth=1
	v_add_u32_e32 v20, v24, v7
	v_mov_b32_e32 v19, 0
	v_cmp_lt_i32_e32 vcc, v20, v16
	v_mov_b32_e32 v18, v19
	s_and_saveexec_b64 s[24:25], vcc
	s_cbranch_execz .LBB27_30
; %bb.19:                               ;   in Loop: Header=BB27_15 Depth=1
	v_mov_b32_e32 v18, 0
	s_mov_b64 s[26:27], 0
	v_mov_b32_e32 v19, v18
	s_branch .LBB27_22
.LBB27_20:                              ;   in Loop: Header=BB27_22 Depth=2
	s_or_b64 exec, exec, s[30:31]
.LBB27_21:                              ;   in Loop: Header=BB27_22 Depth=2
	s_or_b64 exec, exec, s[28:29]
	v_add_u32_e32 v20, 32, v20
	v_cmp_ge_i32_e32 vcc, v20, v16
	s_or_b64 s[26:27], vcc, s[26:27]
	s_andn2_b64 exec, exec, s[26:27]
	s_cbranch_execz .LBB27_29
.LBB27_22:                              ;   Parent Loop BB27_15 Depth=1
                                        ; =>  This Loop Header: Depth=2
                                        ;       Child Loop BB27_25 Depth 3
	v_ashrrev_i32_e32 v21, 31, v20
	v_lshlrev_b64 v[30:31], 2, v[20:21]
	v_add_co_u32_e32 v30, vcc, s18, v30
	v_addc_co_u32_e32 v31, vcc, v25, v31, vcc
	global_load_dword v7, v[30:31], off
	s_waitcnt vmcnt(0)
	v_mul_lo_u32 v17, v7, 7
	v_and_b32_e32 v31, 31, v17
	v_lshl_add_u32 v17, v31, 2, v22
	ds_read_b32 v30, v17
	s_waitcnt lgkmcnt(0)
	v_cmp_ne_u32_e32 vcc, -1, v30
	s_and_saveexec_b64 s[28:29], vcc
	s_cbranch_execz .LBB27_21
; %bb.23:                               ;   in Loop: Header=BB27_22 Depth=2
	s_mov_b64 s[34:35], 0
                                        ; implicit-def: $sgpr30_sgpr31
                                        ; implicit-def: $sgpr38_sgpr39
                                        ; implicit-def: $sgpr36_sgpr37
	s_branch .LBB27_25
.LBB27_24:                              ;   in Loop: Header=BB27_25 Depth=3
	s_or_b64 exec, exec, s[40:41]
	s_and_b64 s[40:41], exec, s[38:39]
	s_or_b64 s[34:35], s[40:41], s[34:35]
	s_andn2_b64 s[30:31], s[30:31], exec
	s_and_b64 s[40:41], s[36:37], exec
	s_or_b64 s[30:31], s[30:31], s[40:41]
	s_andn2_b64 exec, exec, s[34:35]
	s_cbranch_execz .LBB27_27
.LBB27_25:                              ;   Parent Loop BB27_15 Depth=1
                                        ;     Parent Loop BB27_22 Depth=2
                                        ; =>    This Inner Loop Header: Depth=3
	v_mov_b32_e32 v17, v31
	v_cmp_ne_u32_e32 vcc, v30, v7
	s_or_b64 s[36:37], s[36:37], exec
	s_or_b64 s[38:39], s[38:39], exec
                                        ; implicit-def: $vgpr31
                                        ; implicit-def: $vgpr30
	s_and_saveexec_b64 s[40:41], vcc
	s_cbranch_execz .LBB27_24
; %bb.26:                               ;   in Loop: Header=BB27_25 Depth=3
	v_add_u32_e32 v30, 1, v17
	v_and_b32_e32 v31, 31, v30
	v_lshl_add_u32 v30, v31, 2, v22
	ds_read_b32 v30, v30
	s_andn2_b64 s[38:39], s[38:39], exec
	s_andn2_b64 s[36:37], s[36:37], exec
	s_waitcnt lgkmcnt(0)
	v_cmp_eq_u32_e32 vcc, -1, v30
	s_and_b64 s[42:43], vcc, exec
	s_or_b64 s[38:39], s[38:39], s[42:43]
	s_branch .LBB27_24
.LBB27_27:                              ;   in Loop: Header=BB27_22 Depth=2
	s_or_b64 exec, exec, s[34:35]
	s_and_saveexec_b64 s[34:35], s[30:31]
	s_xor_b64 s[30:31], exec, s[34:35]
	s_cbranch_execz .LBB27_20
; %bb.28:                               ;   in Loop: Header=BB27_22 Depth=2
	v_lshl_add_u32 v7, v17, 2, v3
	ds_read_b32 v30, v7
	v_lshlrev_b64 v[32:33], 3, v[20:21]
	v_mov_b32_e32 v7, s21
	v_add_co_u32_e32 v32, vcc, s20, v32
	s_waitcnt lgkmcnt(0)
	v_ashrrev_i32_e32 v31, 31, v30
	v_addc_co_u32_e32 v33, vcc, v7, v33, vcc
	v_lshlrev_b64 v[30:31], 3, v[30:31]
	v_add_co_u32_e32 v30, vcc, s20, v30
	v_addc_co_u32_e32 v31, vcc, v7, v31, vcc
	global_load_dwordx2 v[34:35], v[30:31], off
	global_load_dwordx2 v[36:37], v[32:33], off
	s_waitcnt vmcnt(0)
	v_pk_fma_f32 v[18:19], v[36:37], v[34:35], v[18:19] op_sel:[1,0,0] op_sel_hi:[0,0,1]
	v_pk_fma_f32 v[18:19], v[36:37], v[34:35], v[18:19] op_sel:[0,1,0] neg_lo:[0,1,0]
	s_branch .LBB27_20
.LBB27_29:                              ;   in Loop: Header=BB27_15 Depth=1
	s_or_b64 exec, exec, s[26:27]
.LBB27_30:                              ;   in Loop: Header=BB27_15 Depth=1
	s_or_b64 exec, exec, s[24:25]
	v_mov_b32_e32 v16, v19
	v_mov_b32_e32 v17, v18
	v_mov_b32_dpp v20, v19 row_shr:1 row_mask:0xf bank_mask:0xf
	v_mov_b32_dpp v21, v18 row_shr:1 row_mask:0xf bank_mask:0xf
	v_pk_add_f32 v[16:17], v[16:17], v[20:21]
	s_nop 1
	v_mov_b32_dpp v18, v16 row_shr:2 row_mask:0xf bank_mask:0xf
	v_mov_b32_dpp v19, v17 row_shr:2 row_mask:0xf bank_mask:0xf
	v_pk_add_f32 v[16:17], v[16:17], v[18:19]
	s_nop 1
	;; [unrolled: 4-line block ×4, first 2 shown]
	v_mov_b32_dpp v18, v16 row_bcast:15 row_mask:0xa bank_mask:0xf
	v_mov_b32_dpp v19, v17 row_bcast:15 row_mask:0xa bank_mask:0xf
	s_and_saveexec_b64 s[24:25], s[0:1]
	s_cbranch_execz .LBB27_13
; %bb.31:                               ;   in Loop: Header=BB27_15 Depth=1
	v_mul_f32_e32 v7, v15, v15
	v_fmac_f32_e32 v7, v14, v14
	v_div_scale_f32 v20, s[26:27], v7, v7, 1.0
	v_rcp_f32_e32 v21, v20
	v_div_scale_f32 v30, vcc, 1.0, v7, 1.0
	v_pk_add_f32 v[16:17], v[16:17], v[18:19]
	v_fma_f32 v31, -v20, v21, 1.0
	v_fmac_f32_e32 v21, v31, v21
	v_mul_f32_e32 v31, v30, v21
	v_fma_f32 v32, -v20, v31, v30
	v_fmac_f32_e32 v31, v32, v21
	v_fma_f32 v20, -v20, v31, v30
	v_div_fmas_f32 v20, v20, v21, v31
	v_div_fixup_f32 v7, v20, v7, 1.0
	v_fma_f32 v20, 0, v15, v14
	v_fma_f32 v14, v14, 0, -v15
	v_mul_f32_e32 v14, v14, v7
	v_pk_add_f32 v[12:13], v[12:13], v[16:17] neg_lo:[0,1] neg_hi:[0,1]
	v_mul_f32_e32 v20, v20, v7
	v_pk_mul_f32 v[14:15], v[14:15], v[12:13] op_sel:[0,1] op_sel_hi:[0,0] neg_lo:[0,1]
	v_pk_fma_f32 v[12:13], v[12:13], v[20:21], v[14:15] op_sel_hi:[1,0,1]
	v_xor_b32_e32 v14, 0x80000000, v13
	v_pk_fma_f32 v[8:9], v[12:13], v[12:13], v[8:9] op_sel:[1,0,0] op_sel_hi:[0,0,1]
	v_mov_b32_e32 v15, v13
	v_pk_fma_f32 v[8:9], v[12:13], v[14:15], v[8:9]
	global_store_dwordx2 v[10:11], v[12:13], off
	s_branch .LBB27_13
.LBB27_32:
	s_or_b64 exec, exec, s[10:11]
.LBB27_33:
	s_or_b64 exec, exec, s[6:7]
	v_cmp_eq_u32_e64 s[0:1], 31, v5
	v_cmp_lt_i32_e32 vcc, -1, v4
	s_and_b64 s[2:3], s[0:1], vcc
	s_and_saveexec_b64 s[6:7], s[2:3]
	s_cbranch_execz .LBB27_50
; %bb.34:
	v_mov_b32_e32 v5, 0
	v_lshlrev_b64 v[4:5], 3, v[4:5]
	v_mov_b32_e32 v3, s21
	v_add_co_u32_e32 v4, vcc, s20, v4
	v_addc_co_u32_e32 v5, vcc, v3, v5, vcc
	global_load_dwordx2 v[6:7], v[4:5], off
	s_load_dwordx2 s[2:3], s[4:5], 0x48
	v_add_u32_e32 v2, s33, v2
	s_waitcnt lgkmcnt(0)
	v_mul_f64 v[10:11], s[2:3], s[2:3]
	s_waitcnt vmcnt(0)
	v_pk_add_f32 v[6:7], v[6:7], v[8:9] op_sel:[1,0] op_sel_hi:[0,1] neg_lo:[0,1] neg_hi:[0,1]
	v_cvt_f64_f32_e32 v[8:9], v7
	v_cmp_eq_f32_e32 vcc, 0, v6
	v_cmp_ge_f64_e64 s[2:3], v[10:11], v[8:9]
	s_and_b64 s[4:5], s[2:3], vcc
	s_and_saveexec_b64 s[2:3], s[4:5]
	s_cbranch_execz .LBB27_39
; %bb.35:
	s_mov_b64 s[4:5], exec
	s_brev_b32 s10, -2
.LBB27_36:                              ; =>This Inner Loop Header: Depth=1
	s_ff1_i32_b64 s11, s[4:5]
	v_readlane_b32 s18, v2, s11
	s_lshl_b64 s[16:17], 1, s11
	s_min_i32 s10, s10, s18
	s_andn2_b64 s[4:5], s[4:5], s[16:17]
	s_cmp_lg_u64 s[4:5], 0
	s_cbranch_scc1 .LBB27_36
; %bb.37:
	v_mbcnt_lo_u32_b32 v3, exec_lo, 0
	v_mbcnt_hi_u32_b32 v3, exec_hi, v3
	v_cmp_eq_u32_e32 vcc, 0, v3
	s_and_saveexec_b64 s[4:5], vcc
	s_xor_b64 s[4:5], exec, s[4:5]
	s_cbranch_execz .LBB27_39
; %bb.38:
	v_mov_b32_e32 v3, 0
	v_mov_b32_e32 v8, s10
	global_atomic_smin v3, v8, s[14:15]
.LBB27_39:
	s_or_b64 exec, exec, s[2:3]
	v_cmp_gt_f32_e32 vcc, 0, v6
	v_cndmask_b32_e64 v3, v6, -v6, vcc
	v_cmp_gt_f32_e32 vcc, 0, v7
	v_cndmask_b32_e64 v7, v7, -v7, vcc
	v_cmp_ngt_f32_e32 vcc, v7, v3
                                        ; implicit-def: $vgpr8
	s_and_saveexec_b64 s[2:3], vcc
	s_xor_b64 s[4:5], exec, s[2:3]
	s_cbranch_execz .LBB27_43
; %bb.40:
	v_cmp_neq_f32_e32 vcc, 0, v6
	v_mov_b32_e32 v8, 0
	s_and_saveexec_b64 s[10:11], vcc
	s_cbranch_execz .LBB27_42
; %bb.41:
	v_div_scale_f32 v6, s[2:3], v3, v3, v7
	v_rcp_f32_e32 v8, v6
	v_div_scale_f32 v9, vcc, v7, v3, v7
	s_mov_b32 s2, 0xf800000
	v_fma_f32 v10, -v6, v8, 1.0
	v_fmac_f32_e32 v8, v10, v8
	v_mul_f32_e32 v10, v9, v8
	v_fma_f32 v11, -v6, v10, v9
	v_fmac_f32_e32 v10, v11, v8
	v_fma_f32 v6, -v6, v10, v9
	v_div_fmas_f32 v6, v6, v8, v10
	v_div_fixup_f32 v6, v6, v3, v7
	v_fma_f32 v6, v6, v6, 1.0
	v_mul_f32_e32 v7, 0x4f800000, v6
	v_cmp_gt_f32_e32 vcc, s2, v6
	v_cndmask_b32_e32 v6, v6, v7, vcc
	v_sqrt_f32_e32 v7, v6
	v_add_u32_e32 v8, -1, v7
	v_fma_f32 v9, -v8, v7, v6
	v_cmp_ge_f32_e64 s[2:3], 0, v9
	v_add_u32_e32 v9, 1, v7
	v_cndmask_b32_e64 v8, v7, v8, s[2:3]
	v_fma_f32 v7, -v9, v7, v6
	v_cmp_lt_f32_e64 s[2:3], 0, v7
	v_cndmask_b32_e64 v7, v8, v9, s[2:3]
	v_mul_f32_e32 v8, 0x37800000, v7
	v_cndmask_b32_e32 v7, v7, v8, vcc
	v_mov_b32_e32 v8, 0x260
	v_cmp_class_f32_e32 vcc, v6, v8
	v_cndmask_b32_e32 v6, v7, v6, vcc
	v_mul_f32_e32 v8, v3, v6
.LBB27_42:
	s_or_b64 exec, exec, s[10:11]
                                        ; implicit-def: $vgpr7
                                        ; implicit-def: $vgpr3
.LBB27_43:
	s_andn2_saveexec_b64 s[4:5], s[4:5]
	s_cbranch_execz .LBB27_45
; %bb.44:
	v_div_scale_f32 v6, s[2:3], v7, v7, v3
	v_rcp_f32_e32 v8, v6
	v_div_scale_f32 v9, vcc, v3, v7, v3
	s_mov_b32 s2, 0xf800000
	v_fma_f32 v10, -v6, v8, 1.0
	v_fmac_f32_e32 v8, v10, v8
	v_mul_f32_e32 v10, v9, v8
	v_fma_f32 v11, -v6, v10, v9
	v_fmac_f32_e32 v10, v11, v8
	v_fma_f32 v6, -v6, v10, v9
	v_div_fmas_f32 v6, v6, v8, v10
	v_div_fixup_f32 v3, v6, v7, v3
	v_fma_f32 v3, v3, v3, 1.0
	v_mul_f32_e32 v6, 0x4f800000, v3
	v_cmp_gt_f32_e32 vcc, s2, v3
	v_cndmask_b32_e32 v3, v3, v6, vcc
	v_sqrt_f32_e32 v6, v3
	v_add_u32_e32 v8, -1, v6
	v_fma_f32 v9, -v8, v6, v3
	v_cmp_ge_f32_e64 s[2:3], 0, v9
	v_add_u32_e32 v9, 1, v6
	v_cndmask_b32_e64 v8, v6, v8, s[2:3]
	v_fma_f32 v6, -v9, v6, v3
	v_cmp_lt_f32_e64 s[2:3], 0, v6
	v_cndmask_b32_e64 v6, v8, v9, s[2:3]
	v_mul_f32_e32 v8, 0x37800000, v6
	v_cndmask_b32_e32 v6, v6, v8, vcc
	v_mov_b32_e32 v8, 0x260
	v_cmp_class_f32_e32 vcc, v3, v8
	v_cndmask_b32_e32 v3, v6, v3, vcc
	v_mul_f32_e32 v8, v7, v3
.LBB27_45:
	s_or_b64 exec, exec, s[4:5]
	s_mov_b32 s2, 0xf800000
	v_mul_f32_e32 v3, 0x4f800000, v8
	v_cmp_gt_f32_e32 vcc, s2, v8
	v_cndmask_b32_e32 v3, v8, v3, vcc
	v_sqrt_f32_e32 v6, v3
	v_add_u32_e32 v7, -1, v6
	v_fma_f32 v8, -v7, v6, v3
	v_cmp_ge_f32_e64 s[2:3], 0, v8
	v_add_u32_e32 v8, 1, v6
	v_cndmask_b32_e64 v7, v6, v7, s[2:3]
	v_fma_f32 v6, -v8, v6, v3
	v_cmp_lt_f32_e64 s[2:3], 0, v6
	v_cndmask_b32_e64 v6, v7, v8, s[2:3]
	v_mul_f32_e32 v7, 0x37800000, v6
	v_cndmask_b32_e32 v6, v6, v7, vcc
	v_mov_b32_e32 v7, 0x260
	v_cmp_class_f32_e32 vcc, v3, v7
	v_cndmask_b32_e32 v6, v6, v3, vcc
	v_mov_b32_e32 v7, 0
	v_cmp_eq_f32_e32 vcc, 0, v6
	global_store_dwordx2 v[4:5], v[6:7], off
	s_and_b64 exec, exec, vcc
	s_cbranch_execz .LBB27_50
; %bb.46:
	s_mov_b64 s[2:3], exec
	s_brev_b32 s4, -2
.LBB27_47:                              ; =>This Inner Loop Header: Depth=1
	s_ff1_i32_b64 s5, s[2:3]
	v_readlane_b32 s14, v2, s5
	s_lshl_b64 s[10:11], 1, s5
	s_min_i32 s4, s4, s14
	s_andn2_b64 s[2:3], s[2:3], s[10:11]
	s_cmp_lg_u64 s[2:3], 0
	s_cbranch_scc1 .LBB27_47
; %bb.48:
	v_mbcnt_lo_u32_b32 v2, exec_lo, 0
	v_mbcnt_hi_u32_b32 v2, exec_hi, v2
	v_cmp_eq_u32_e32 vcc, 0, v2
	s_and_saveexec_b64 s[2:3], vcc
	s_xor_b64 s[2:3], exec, s[2:3]
	s_cbranch_execz .LBB27_50
; %bb.49:
	v_mov_b32_e32 v2, 0
	v_mov_b32_e32 v3, s4
	global_atomic_smin v2, v3, s[12:13]
.LBB27_50:
	s_or_b64 exec, exec, s[6:7]
	s_and_b64 exec, exec, s[0:1]
	s_cbranch_execz .LBB27_52
; %bb.51:
	v_mov_b32_e32 v2, s9
	v_add_co_u32_e32 v0, vcc, s8, v0
	v_addc_co_u32_e32 v1, vcc, v2, v1, vcc
	v_mov_b32_e32 v2, 1
	s_waitcnt vmcnt(0)
	global_store_dword v[0:1], v2, off
.LBB27_52:
	s_endpgm
	.section	.rodata,"a",@progbits
	.p2align	6, 0x0
	.amdhsa_kernel _ZN9rocsparseL18csric0_hash_kernelILj256ELj32ELj1E21rocsparse_complex_numIfEEEviPKiS4_PT2_S4_PiS4_S7_S7_d21rocsparse_index_base_
		.amdhsa_group_segment_fixed_size 2048
		.amdhsa_private_segment_fixed_size 0
		.amdhsa_kernarg_size 84
		.amdhsa_user_sgpr_count 6
		.amdhsa_user_sgpr_private_segment_buffer 1
		.amdhsa_user_sgpr_dispatch_ptr 0
		.amdhsa_user_sgpr_queue_ptr 0
		.amdhsa_user_sgpr_kernarg_segment_ptr 1
		.amdhsa_user_sgpr_dispatch_id 0
		.amdhsa_user_sgpr_flat_scratch_init 0
		.amdhsa_user_sgpr_kernarg_preload_length 0
		.amdhsa_user_sgpr_kernarg_preload_offset 0
		.amdhsa_user_sgpr_private_segment_size 0
		.amdhsa_uses_dynamic_stack 0
		.amdhsa_system_sgpr_private_segment_wavefront_offset 0
		.amdhsa_system_sgpr_workgroup_id_x 1
		.amdhsa_system_sgpr_workgroup_id_y 0
		.amdhsa_system_sgpr_workgroup_id_z 0
		.amdhsa_system_sgpr_workgroup_info 0
		.amdhsa_system_vgpr_workitem_id 0
		.amdhsa_next_free_vgpr 38
		.amdhsa_next_free_sgpr 44
		.amdhsa_accum_offset 40
		.amdhsa_reserve_vcc 1
		.amdhsa_reserve_flat_scratch 0
		.amdhsa_float_round_mode_32 0
		.amdhsa_float_round_mode_16_64 0
		.amdhsa_float_denorm_mode_32 3
		.amdhsa_float_denorm_mode_16_64 3
		.amdhsa_dx10_clamp 1
		.amdhsa_ieee_mode 1
		.amdhsa_fp16_overflow 0
		.amdhsa_tg_split 0
		.amdhsa_exception_fp_ieee_invalid_op 0
		.amdhsa_exception_fp_denorm_src 0
		.amdhsa_exception_fp_ieee_div_zero 0
		.amdhsa_exception_fp_ieee_overflow 0
		.amdhsa_exception_fp_ieee_underflow 0
		.amdhsa_exception_fp_ieee_inexact 0
		.amdhsa_exception_int_div_zero 0
	.end_amdhsa_kernel
	.section	.text._ZN9rocsparseL18csric0_hash_kernelILj256ELj32ELj1E21rocsparse_complex_numIfEEEviPKiS4_PT2_S4_PiS4_S7_S7_d21rocsparse_index_base_,"axG",@progbits,_ZN9rocsparseL18csric0_hash_kernelILj256ELj32ELj1E21rocsparse_complex_numIfEEEviPKiS4_PT2_S4_PiS4_S7_S7_d21rocsparse_index_base_,comdat
.Lfunc_end27:
	.size	_ZN9rocsparseL18csric0_hash_kernelILj256ELj32ELj1E21rocsparse_complex_numIfEEEviPKiS4_PT2_S4_PiS4_S7_S7_d21rocsparse_index_base_, .Lfunc_end27-_ZN9rocsparseL18csric0_hash_kernelILj256ELj32ELj1E21rocsparse_complex_numIfEEEviPKiS4_PT2_S4_PiS4_S7_S7_d21rocsparse_index_base_
                                        ; -- End function
	.section	.AMDGPU.csdata,"",@progbits
; Kernel info:
; codeLenInByte = 2504
; NumSgprs: 48
; NumVgprs: 38
; NumAgprs: 0
; TotalNumVgprs: 38
; ScratchSize: 0
; MemoryBound: 0
; FloatMode: 240
; IeeeMode: 1
; LDSByteSize: 2048 bytes/workgroup (compile time only)
; SGPRBlocks: 5
; VGPRBlocks: 4
; NumSGPRsForWavesPerEU: 48
; NumVGPRsForWavesPerEU: 38
; AccumOffset: 40
; Occupancy: 8
; WaveLimiterHint : 1
; COMPUTE_PGM_RSRC2:SCRATCH_EN: 0
; COMPUTE_PGM_RSRC2:USER_SGPR: 6
; COMPUTE_PGM_RSRC2:TRAP_HANDLER: 0
; COMPUTE_PGM_RSRC2:TGID_X_EN: 1
; COMPUTE_PGM_RSRC2:TGID_Y_EN: 0
; COMPUTE_PGM_RSRC2:TGID_Z_EN: 0
; COMPUTE_PGM_RSRC2:TIDIG_COMP_CNT: 0
; COMPUTE_PGM_RSRC3_GFX90A:ACCUM_OFFSET: 9
; COMPUTE_PGM_RSRC3_GFX90A:TG_SPLIT: 0
	.section	.text._ZN9rocsparseL18csric0_hash_kernelILj256ELj32ELj2E21rocsparse_complex_numIfEEEviPKiS4_PT2_S4_PiS4_S7_S7_d21rocsparse_index_base_,"axG",@progbits,_ZN9rocsparseL18csric0_hash_kernelILj256ELj32ELj2E21rocsparse_complex_numIfEEEviPKiS4_PT2_S4_PiS4_S7_S7_d21rocsparse_index_base_,comdat
	.globl	_ZN9rocsparseL18csric0_hash_kernelILj256ELj32ELj2E21rocsparse_complex_numIfEEEviPKiS4_PT2_S4_PiS4_S7_S7_d21rocsparse_index_base_ ; -- Begin function _ZN9rocsparseL18csric0_hash_kernelILj256ELj32ELj2E21rocsparse_complex_numIfEEEviPKiS4_PT2_S4_PiS4_S7_S7_d21rocsparse_index_base_
	.p2align	8
	.type	_ZN9rocsparseL18csric0_hash_kernelILj256ELj32ELj2E21rocsparse_complex_numIfEEEviPKiS4_PT2_S4_PiS4_S7_S7_d21rocsparse_index_base_,@function
_ZN9rocsparseL18csric0_hash_kernelILj256ELj32ELj2E21rocsparse_complex_numIfEEEviPKiS4_PT2_S4_PiS4_S7_S7_d21rocsparse_index_base_: ; @_ZN9rocsparseL18csric0_hash_kernelILj256ELj32ELj2E21rocsparse_complex_numIfEEEviPKiS4_PT2_S4_PiS4_S7_S7_d21rocsparse_index_base_
; %bb.0:
	s_load_dword s0, s[4:5], 0x0
	v_lshlrev_b32_e32 v1, 1, v0
	s_lshl_b32 s1, s6, 3
	v_and_b32_e32 v5, 31, v0
	v_and_b32_e32 v6, 0x1c0, v1
	v_mov_b32_e32 v1, 0x800
	v_lshrrev_b32_e32 v0, 5, v0
	s_and_b32 s1, s1, 0x7fffff8
	v_lshl_or_b32 v22, v6, 2, v1
	v_or_b32_e32 v0, s1, v0
	v_lshl_or_b32 v1, v5, 2, v22
	v_mov_b32_e32 v2, -1
	s_waitcnt lgkmcnt(0)
	v_cmp_gt_i32_e32 vcc, s0, v0
	ds_write2_b32 v1, v2, v2 offset1:32
	s_waitcnt lgkmcnt(0)
	s_and_saveexec_b64 s[0:1], vcc
	s_cbranch_execz .LBB28_52
; %bb.1:
	s_load_dwordx8 s[8:15], s[4:5], 0x28
	v_lshlrev_b32_e32 v0, 2, v0
	s_load_dwordx8 s[16:23], s[4:5], 0x8
	s_load_dword s33, s[4:5], 0x50
	s_waitcnt lgkmcnt(0)
	global_load_dword v2, v0, s[10:11]
	v_mov_b32_e32 v7, s17
	v_mov_b32_e32 v4, s23
	s_waitcnt vmcnt(0)
	v_ashrrev_i32_e32 v3, 31, v2
	v_lshlrev_b64 v[0:1], 2, v[2:3]
	v_add_co_u32_e32 v8, vcc, s16, v0
	v_addc_co_u32_e32 v9, vcc, v7, v1, vcc
	global_load_dwordx2 v[8:9], v[8:9], off
	v_add_co_u32_e32 v10, vcc, s22, v0
	v_addc_co_u32_e32 v11, vcc, v4, v1, vcc
	global_load_dword v4, v[10:11], off
	v_lshlrev_b32_e32 v3, 2, v6
	s_waitcnt vmcnt(1)
	v_subrev_u32_e32 v6, s33, v8
	v_subrev_u32_e32 v7, s33, v9
	v_add_u32_e32 v8, v6, v5
	v_cmp_lt_i32_e32 vcc, v8, v7
	s_and_saveexec_b64 s[0:1], vcc
	s_cbranch_execz .LBB28_11
; %bb.2:
	s_mov_b64 s[2:3], 0
	v_mov_b32_e32 v10, s19
	v_mov_b32_e32 v11, -1
	s_branch .LBB28_4
.LBB28_3:                               ;   in Loop: Header=BB28_4 Depth=1
	s_or_b64 exec, exec, s[6:7]
	v_add_u32_e32 v8, 32, v8
	v_cmp_ge_i32_e32 vcc, v8, v7
	s_or_b64 s[2:3], vcc, s[2:3]
	s_andn2_b64 exec, exec, s[2:3]
	s_cbranch_execz .LBB28_11
.LBB28_4:                               ; =>This Loop Header: Depth=1
                                        ;     Child Loop BB28_7 Depth 2
	v_ashrrev_i32_e32 v9, 31, v8
	v_lshlrev_b64 v[12:13], 2, v[8:9]
	v_add_co_u32_e32 v12, vcc, s18, v12
	v_addc_co_u32_e32 v13, vcc, v10, v13, vcc
	global_load_dword v9, v[12:13], off
	s_waitcnt vmcnt(0)
	v_mul_lo_u32 v12, v9, 39
	v_and_b32_e32 v12, 63, v12
	v_lshl_add_u32 v13, v12, 2, v22
	ds_read_b32 v14, v13
	s_waitcnt lgkmcnt(0)
	v_cmp_ne_u32_e32 vcc, v14, v9
	s_and_saveexec_b64 s[6:7], vcc
	s_cbranch_execz .LBB28_3
; %bb.5:                                ;   in Loop: Header=BB28_4 Depth=1
	s_mov_b64 s[10:11], 0
                                        ; implicit-def: $sgpr24_sgpr25
                                        ; implicit-def: $sgpr28_sgpr29
                                        ; implicit-def: $sgpr26_sgpr27
	s_branch .LBB28_7
.LBB28_6:                               ;   in Loop: Header=BB28_7 Depth=2
	s_or_b64 exec, exec, s[30:31]
	s_and_b64 s[30:31], exec, s[28:29]
	s_or_b64 s[10:11], s[30:31], s[10:11]
	s_andn2_b64 s[24:25], s[24:25], exec
	s_and_b64 s[30:31], s[26:27], exec
	s_or_b64 s[24:25], s[24:25], s[30:31]
	s_andn2_b64 exec, exec, s[10:11]
	s_cbranch_execz .LBB28_9
.LBB28_7:                               ;   Parent Loop BB28_4 Depth=1
                                        ; =>  This Inner Loop Header: Depth=2
	ds_cmpst_rtn_b32 v13, v13, v11, v9
	v_mov_b32_e32 v14, v12
	s_or_b64 s[26:27], s[26:27], exec
	s_or_b64 s[28:29], s[28:29], exec
                                        ; implicit-def: $vgpr12
	s_waitcnt lgkmcnt(0)
	v_cmp_ne_u32_e32 vcc, -1, v13
                                        ; implicit-def: $vgpr13
	s_and_saveexec_b64 s[30:31], vcc
	s_cbranch_execz .LBB28_6
; %bb.8:                                ;   in Loop: Header=BB28_7 Depth=2
	v_add_u32_e32 v12, 1, v14
	v_and_b32_e32 v12, 63, v12
	v_lshl_add_u32 v13, v12, 2, v22
	ds_read_b32 v15, v13
	s_andn2_b64 s[28:29], s[28:29], exec
	s_andn2_b64 s[26:27], s[26:27], exec
	s_waitcnt lgkmcnt(0)
	v_cmp_eq_u32_e32 vcc, v15, v9
	s_and_b64 s[34:35], vcc, exec
	s_or_b64 s[28:29], s[28:29], s[34:35]
	s_branch .LBB28_6
.LBB28_9:                               ;   in Loop: Header=BB28_4 Depth=1
	s_or_b64 exec, exec, s[10:11]
	s_and_saveexec_b64 s[10:11], s[24:25]
	s_xor_b64 s[10:11], exec, s[10:11]
	s_cbranch_execz .LBB28_3
; %bb.10:                               ;   in Loop: Header=BB28_4 Depth=1
	v_lshl_add_u32 v9, v14, 2, v3
	ds_write_b32 v9, v8
	s_branch .LBB28_3
.LBB28_11:
	s_or_b64 exec, exec, s[0:1]
	v_mov_b32_e32 v9, 0
	s_waitcnt vmcnt(0)
	v_cmp_lt_i32_e32 vcc, v6, v4
	v_mov_b32_e32 v8, v9
	s_waitcnt lgkmcnt(0)
	s_and_saveexec_b64 s[6:7], vcc
	s_cbranch_execz .LBB28_33
; %bb.12:
	v_mov_b32_e32 v8, 0
	v_add_u32_e32 v23, -1, v4
	v_subrev_u32_e32 v24, s33, v5
	v_cmp_eq_u32_e64 s[0:1], 31, v5
	s_mov_b64 s[10:11], 0
	v_mov_b32_e32 v25, s19
	v_mov_b32_e32 v26, s21
	;; [unrolled: 1-line block ×6, first 2 shown]
	s_branch .LBB28_15
.LBB28_13:                              ;   in Loop: Header=BB28_15 Depth=1
	s_or_b64 exec, exec, s[24:25]
	v_add_u32_e32 v6, 1, v6
	v_cmp_ge_i32_e32 vcc, v6, v4
	s_orn2_b64 s[24:25], vcc, exec
.LBB28_14:                              ;   in Loop: Header=BB28_15 Depth=1
	s_or_b64 exec, exec, s[2:3]
	s_and_b64 s[2:3], exec, s[24:25]
	s_or_b64 s[10:11], s[2:3], s[10:11]
	s_andn2_b64 exec, exec, s[10:11]
	s_cbranch_execz .LBB28_32
.LBB28_15:                              ; =>This Loop Header: Depth=1
                                        ;     Child Loop BB28_16 Depth 2
                                        ;     Child Loop BB28_22 Depth 2
                                        ;       Child Loop BB28_25 Depth 3
	v_ashrrev_i32_e32 v7, 31, v6
	v_lshlrev_b64 v[10:11], 2, v[6:7]
	v_add_co_u32_e32 v10, vcc, s18, v10
	v_addc_co_u32_e32 v11, vcc, v25, v11, vcc
	global_load_dword v14, v[10:11], off
	v_lshlrev_b64 v[10:11], 3, v[6:7]
	v_add_co_u32_e32 v10, vcc, s20, v10
	v_addc_co_u32_e32 v11, vcc, v26, v11, vcc
	global_load_dwordx2 v[12:13], v[10:11], off
	s_mov_b64 s[2:3], 0
	s_waitcnt vmcnt(1)
	v_subrev_u32_e32 v14, s33, v14
	v_ashrrev_i32_e32 v15, 31, v14
	v_lshlrev_b64 v[14:15], 2, v[14:15]
	v_add_co_u32_e32 v18, vcc, s16, v14
	v_addc_co_u32_e32 v19, vcc, v27, v15, vcc
	v_add_co_u32_e32 v20, vcc, s22, v14
	v_addc_co_u32_e32 v21, vcc, v28, v15, vcc
	global_load_dword v7, v[18:19], off
	global_load_dword v16, v[20:21], off
	v_add_co_u32_e32 v14, vcc, s8, v14
	v_addc_co_u32_e32 v15, vcc, v29, v15, vcc
.LBB28_16:                              ;   Parent Loop BB28_15 Depth=1
                                        ; =>  This Inner Loop Header: Depth=2
	global_load_dword v17, v[14:15], off glc
	s_waitcnt vmcnt(0)
	v_cmp_ne_u32_e32 vcc, 0, v17
	s_or_b64 s[2:3], vcc, s[2:3]
	s_andn2_b64 exec, exec, s[2:3]
	s_cbranch_execnz .LBB28_16
; %bb.17:                               ;   in Loop: Header=BB28_15 Depth=1
	s_or_b64 exec, exec, s[2:3]
	v_cmp_eq_u32_e32 vcc, -1, v16
	v_cndmask_b32_e32 v16, v16, v23, vcc
	v_ashrrev_i32_e32 v17, 31, v16
	v_lshlrev_b64 v[14:15], 3, v[16:17]
	v_add_co_u32_e32 v14, vcc, s20, v14
	v_addc_co_u32_e32 v15, vcc, v26, v15, vcc
	buffer_wbinvl1_vol
	global_load_dwordx2 v[14:15], v[14:15], off
	s_mov_b64 s[24:25], -1
	s_waitcnt vmcnt(0)
	v_cmp_neq_f32_e32 vcc, 0, v14
	v_cmp_neq_f32_e64 s[2:3], 0, v15
	s_or_b64 s[26:27], vcc, s[2:3]
	s_and_saveexec_b64 s[2:3], s[26:27]
	s_cbranch_execz .LBB28_14
; %bb.18:                               ;   in Loop: Header=BB28_15 Depth=1
	v_add_u32_e32 v20, v24, v7
	v_mov_b32_e32 v19, 0
	v_cmp_lt_i32_e32 vcc, v20, v16
	v_mov_b32_e32 v18, v19
	s_and_saveexec_b64 s[24:25], vcc
	s_cbranch_execz .LBB28_30
; %bb.19:                               ;   in Loop: Header=BB28_15 Depth=1
	v_mov_b32_e32 v18, 0
	s_mov_b64 s[26:27], 0
	v_mov_b32_e32 v19, v18
	s_branch .LBB28_22
.LBB28_20:                              ;   in Loop: Header=BB28_22 Depth=2
	s_or_b64 exec, exec, s[30:31]
.LBB28_21:                              ;   in Loop: Header=BB28_22 Depth=2
	s_or_b64 exec, exec, s[28:29]
	v_add_u32_e32 v20, 32, v20
	v_cmp_ge_i32_e32 vcc, v20, v16
	s_or_b64 s[26:27], vcc, s[26:27]
	s_andn2_b64 exec, exec, s[26:27]
	s_cbranch_execz .LBB28_29
.LBB28_22:                              ;   Parent Loop BB28_15 Depth=1
                                        ; =>  This Loop Header: Depth=2
                                        ;       Child Loop BB28_25 Depth 3
	v_ashrrev_i32_e32 v21, 31, v20
	v_lshlrev_b64 v[30:31], 2, v[20:21]
	v_add_co_u32_e32 v30, vcc, s18, v30
	v_addc_co_u32_e32 v31, vcc, v25, v31, vcc
	global_load_dword v7, v[30:31], off
	s_waitcnt vmcnt(0)
	v_mul_lo_u32 v17, v7, 39
	v_and_b32_e32 v31, 63, v17
	v_lshl_add_u32 v17, v31, 2, v22
	ds_read_b32 v30, v17
	s_waitcnt lgkmcnt(0)
	v_cmp_ne_u32_e32 vcc, -1, v30
	s_and_saveexec_b64 s[28:29], vcc
	s_cbranch_execz .LBB28_21
; %bb.23:                               ;   in Loop: Header=BB28_22 Depth=2
	s_mov_b64 s[34:35], 0
                                        ; implicit-def: $sgpr30_sgpr31
                                        ; implicit-def: $sgpr38_sgpr39
                                        ; implicit-def: $sgpr36_sgpr37
	s_branch .LBB28_25
.LBB28_24:                              ;   in Loop: Header=BB28_25 Depth=3
	s_or_b64 exec, exec, s[40:41]
	s_and_b64 s[40:41], exec, s[38:39]
	s_or_b64 s[34:35], s[40:41], s[34:35]
	s_andn2_b64 s[30:31], s[30:31], exec
	s_and_b64 s[40:41], s[36:37], exec
	s_or_b64 s[30:31], s[30:31], s[40:41]
	s_andn2_b64 exec, exec, s[34:35]
	s_cbranch_execz .LBB28_27
.LBB28_25:                              ;   Parent Loop BB28_15 Depth=1
                                        ;     Parent Loop BB28_22 Depth=2
                                        ; =>    This Inner Loop Header: Depth=3
	v_mov_b32_e32 v17, v31
	v_cmp_ne_u32_e32 vcc, v30, v7
	s_or_b64 s[36:37], s[36:37], exec
	s_or_b64 s[38:39], s[38:39], exec
                                        ; implicit-def: $vgpr31
                                        ; implicit-def: $vgpr30
	s_and_saveexec_b64 s[40:41], vcc
	s_cbranch_execz .LBB28_24
; %bb.26:                               ;   in Loop: Header=BB28_25 Depth=3
	v_add_u32_e32 v30, 1, v17
	v_and_b32_e32 v31, 63, v30
	v_lshl_add_u32 v30, v31, 2, v22
	ds_read_b32 v30, v30
	s_andn2_b64 s[38:39], s[38:39], exec
	s_andn2_b64 s[36:37], s[36:37], exec
	s_waitcnt lgkmcnt(0)
	v_cmp_eq_u32_e32 vcc, -1, v30
	s_and_b64 s[42:43], vcc, exec
	s_or_b64 s[38:39], s[38:39], s[42:43]
	s_branch .LBB28_24
.LBB28_27:                              ;   in Loop: Header=BB28_22 Depth=2
	s_or_b64 exec, exec, s[34:35]
	s_and_saveexec_b64 s[34:35], s[30:31]
	s_xor_b64 s[30:31], exec, s[34:35]
	s_cbranch_execz .LBB28_20
; %bb.28:                               ;   in Loop: Header=BB28_22 Depth=2
	v_lshl_add_u32 v7, v17, 2, v3
	ds_read_b32 v30, v7
	v_lshlrev_b64 v[32:33], 3, v[20:21]
	v_mov_b32_e32 v7, s21
	v_add_co_u32_e32 v32, vcc, s20, v32
	s_waitcnt lgkmcnt(0)
	v_ashrrev_i32_e32 v31, 31, v30
	v_addc_co_u32_e32 v33, vcc, v7, v33, vcc
	v_lshlrev_b64 v[30:31], 3, v[30:31]
	v_add_co_u32_e32 v30, vcc, s20, v30
	v_addc_co_u32_e32 v31, vcc, v7, v31, vcc
	global_load_dwordx2 v[34:35], v[30:31], off
	global_load_dwordx2 v[36:37], v[32:33], off
	s_waitcnt vmcnt(0)
	v_pk_fma_f32 v[18:19], v[36:37], v[34:35], v[18:19] op_sel:[1,0,0] op_sel_hi:[0,0,1]
	v_pk_fma_f32 v[18:19], v[36:37], v[34:35], v[18:19] op_sel:[0,1,0] neg_lo:[0,1,0]
	s_branch .LBB28_20
.LBB28_29:                              ;   in Loop: Header=BB28_15 Depth=1
	s_or_b64 exec, exec, s[26:27]
.LBB28_30:                              ;   in Loop: Header=BB28_15 Depth=1
	s_or_b64 exec, exec, s[24:25]
	v_mov_b32_e32 v16, v19
	v_mov_b32_e32 v17, v18
	v_mov_b32_dpp v20, v19 row_shr:1 row_mask:0xf bank_mask:0xf
	v_mov_b32_dpp v21, v18 row_shr:1 row_mask:0xf bank_mask:0xf
	v_pk_add_f32 v[16:17], v[16:17], v[20:21]
	s_nop 1
	v_mov_b32_dpp v18, v16 row_shr:2 row_mask:0xf bank_mask:0xf
	v_mov_b32_dpp v19, v17 row_shr:2 row_mask:0xf bank_mask:0xf
	v_pk_add_f32 v[16:17], v[16:17], v[18:19]
	s_nop 1
	v_mov_b32_dpp v18, v16 row_shr:4 row_mask:0xf bank_mask:0xe
	v_mov_b32_dpp v19, v17 row_shr:4 row_mask:0xf bank_mask:0xe
	v_pk_add_f32 v[16:17], v[16:17], v[18:19]
	s_nop 1
	v_mov_b32_dpp v18, v16 row_shr:8 row_mask:0xf bank_mask:0xc
	v_mov_b32_dpp v19, v17 row_shr:8 row_mask:0xf bank_mask:0xc
	v_pk_add_f32 v[16:17], v[16:17], v[18:19]
	s_nop 1
	v_mov_b32_dpp v18, v16 row_bcast:15 row_mask:0xa bank_mask:0xf
	v_mov_b32_dpp v19, v17 row_bcast:15 row_mask:0xa bank_mask:0xf
	s_and_saveexec_b64 s[24:25], s[0:1]
	s_cbranch_execz .LBB28_13
; %bb.31:                               ;   in Loop: Header=BB28_15 Depth=1
	v_mul_f32_e32 v7, v15, v15
	v_fmac_f32_e32 v7, v14, v14
	v_div_scale_f32 v20, s[26:27], v7, v7, 1.0
	v_rcp_f32_e32 v21, v20
	v_div_scale_f32 v30, vcc, 1.0, v7, 1.0
	v_pk_add_f32 v[16:17], v[16:17], v[18:19]
	v_fma_f32 v31, -v20, v21, 1.0
	v_fmac_f32_e32 v21, v31, v21
	v_mul_f32_e32 v31, v30, v21
	v_fma_f32 v32, -v20, v31, v30
	v_fmac_f32_e32 v31, v32, v21
	v_fma_f32 v20, -v20, v31, v30
	v_div_fmas_f32 v20, v20, v21, v31
	v_div_fixup_f32 v7, v20, v7, 1.0
	v_fma_f32 v20, 0, v15, v14
	v_fma_f32 v14, v14, 0, -v15
	v_mul_f32_e32 v14, v14, v7
	v_pk_add_f32 v[12:13], v[12:13], v[16:17] neg_lo:[0,1] neg_hi:[0,1]
	v_mul_f32_e32 v20, v20, v7
	v_pk_mul_f32 v[14:15], v[14:15], v[12:13] op_sel:[0,1] op_sel_hi:[0,0] neg_lo:[0,1]
	v_pk_fma_f32 v[12:13], v[12:13], v[20:21], v[14:15] op_sel_hi:[1,0,1]
	v_xor_b32_e32 v14, 0x80000000, v13
	v_pk_fma_f32 v[8:9], v[12:13], v[12:13], v[8:9] op_sel:[1,0,0] op_sel_hi:[0,0,1]
	v_mov_b32_e32 v15, v13
	v_pk_fma_f32 v[8:9], v[12:13], v[14:15], v[8:9]
	global_store_dwordx2 v[10:11], v[12:13], off
	s_branch .LBB28_13
.LBB28_32:
	s_or_b64 exec, exec, s[10:11]
.LBB28_33:
	s_or_b64 exec, exec, s[6:7]
	v_cmp_eq_u32_e64 s[0:1], 31, v5
	v_cmp_lt_i32_e32 vcc, -1, v4
	s_and_b64 s[2:3], s[0:1], vcc
	s_and_saveexec_b64 s[6:7], s[2:3]
	s_cbranch_execz .LBB28_50
; %bb.34:
	v_mov_b32_e32 v5, 0
	v_lshlrev_b64 v[4:5], 3, v[4:5]
	v_mov_b32_e32 v3, s21
	v_add_co_u32_e32 v4, vcc, s20, v4
	v_addc_co_u32_e32 v5, vcc, v3, v5, vcc
	global_load_dwordx2 v[6:7], v[4:5], off
	s_load_dwordx2 s[2:3], s[4:5], 0x48
	v_add_u32_e32 v2, s33, v2
	s_waitcnt lgkmcnt(0)
	v_mul_f64 v[10:11], s[2:3], s[2:3]
	s_waitcnt vmcnt(0)
	v_pk_add_f32 v[6:7], v[6:7], v[8:9] op_sel:[1,0] op_sel_hi:[0,1] neg_lo:[0,1] neg_hi:[0,1]
	v_cvt_f64_f32_e32 v[8:9], v7
	v_cmp_eq_f32_e32 vcc, 0, v6
	v_cmp_ge_f64_e64 s[2:3], v[10:11], v[8:9]
	s_and_b64 s[4:5], s[2:3], vcc
	s_and_saveexec_b64 s[2:3], s[4:5]
	s_cbranch_execz .LBB28_39
; %bb.35:
	s_mov_b64 s[4:5], exec
	s_brev_b32 s10, -2
.LBB28_36:                              ; =>This Inner Loop Header: Depth=1
	s_ff1_i32_b64 s11, s[4:5]
	v_readlane_b32 s18, v2, s11
	s_lshl_b64 s[16:17], 1, s11
	s_min_i32 s10, s10, s18
	s_andn2_b64 s[4:5], s[4:5], s[16:17]
	s_cmp_lg_u64 s[4:5], 0
	s_cbranch_scc1 .LBB28_36
; %bb.37:
	v_mbcnt_lo_u32_b32 v3, exec_lo, 0
	v_mbcnt_hi_u32_b32 v3, exec_hi, v3
	v_cmp_eq_u32_e32 vcc, 0, v3
	s_and_saveexec_b64 s[4:5], vcc
	s_xor_b64 s[4:5], exec, s[4:5]
	s_cbranch_execz .LBB28_39
; %bb.38:
	v_mov_b32_e32 v3, 0
	v_mov_b32_e32 v8, s10
	global_atomic_smin v3, v8, s[14:15]
.LBB28_39:
	s_or_b64 exec, exec, s[2:3]
	v_cmp_gt_f32_e32 vcc, 0, v6
	v_cndmask_b32_e64 v3, v6, -v6, vcc
	v_cmp_gt_f32_e32 vcc, 0, v7
	v_cndmask_b32_e64 v7, v7, -v7, vcc
	v_cmp_ngt_f32_e32 vcc, v7, v3
                                        ; implicit-def: $vgpr8
	s_and_saveexec_b64 s[2:3], vcc
	s_xor_b64 s[4:5], exec, s[2:3]
	s_cbranch_execz .LBB28_43
; %bb.40:
	v_cmp_neq_f32_e32 vcc, 0, v6
	v_mov_b32_e32 v8, 0
	s_and_saveexec_b64 s[10:11], vcc
	s_cbranch_execz .LBB28_42
; %bb.41:
	v_div_scale_f32 v6, s[2:3], v3, v3, v7
	v_rcp_f32_e32 v8, v6
	v_div_scale_f32 v9, vcc, v7, v3, v7
	s_mov_b32 s2, 0xf800000
	v_fma_f32 v10, -v6, v8, 1.0
	v_fmac_f32_e32 v8, v10, v8
	v_mul_f32_e32 v10, v9, v8
	v_fma_f32 v11, -v6, v10, v9
	v_fmac_f32_e32 v10, v11, v8
	v_fma_f32 v6, -v6, v10, v9
	v_div_fmas_f32 v6, v6, v8, v10
	v_div_fixup_f32 v6, v6, v3, v7
	v_fma_f32 v6, v6, v6, 1.0
	v_mul_f32_e32 v7, 0x4f800000, v6
	v_cmp_gt_f32_e32 vcc, s2, v6
	v_cndmask_b32_e32 v6, v6, v7, vcc
	v_sqrt_f32_e32 v7, v6
	v_add_u32_e32 v8, -1, v7
	v_fma_f32 v9, -v8, v7, v6
	v_cmp_ge_f32_e64 s[2:3], 0, v9
	v_add_u32_e32 v9, 1, v7
	v_cndmask_b32_e64 v8, v7, v8, s[2:3]
	v_fma_f32 v7, -v9, v7, v6
	v_cmp_lt_f32_e64 s[2:3], 0, v7
	v_cndmask_b32_e64 v7, v8, v9, s[2:3]
	v_mul_f32_e32 v8, 0x37800000, v7
	v_cndmask_b32_e32 v7, v7, v8, vcc
	v_mov_b32_e32 v8, 0x260
	v_cmp_class_f32_e32 vcc, v6, v8
	v_cndmask_b32_e32 v6, v7, v6, vcc
	v_mul_f32_e32 v8, v3, v6
.LBB28_42:
	s_or_b64 exec, exec, s[10:11]
                                        ; implicit-def: $vgpr7
                                        ; implicit-def: $vgpr3
.LBB28_43:
	s_andn2_saveexec_b64 s[4:5], s[4:5]
	s_cbranch_execz .LBB28_45
; %bb.44:
	v_div_scale_f32 v6, s[2:3], v7, v7, v3
	v_rcp_f32_e32 v8, v6
	v_div_scale_f32 v9, vcc, v3, v7, v3
	s_mov_b32 s2, 0xf800000
	v_fma_f32 v10, -v6, v8, 1.0
	v_fmac_f32_e32 v8, v10, v8
	v_mul_f32_e32 v10, v9, v8
	v_fma_f32 v11, -v6, v10, v9
	v_fmac_f32_e32 v10, v11, v8
	v_fma_f32 v6, -v6, v10, v9
	v_div_fmas_f32 v6, v6, v8, v10
	v_div_fixup_f32 v3, v6, v7, v3
	v_fma_f32 v3, v3, v3, 1.0
	v_mul_f32_e32 v6, 0x4f800000, v3
	v_cmp_gt_f32_e32 vcc, s2, v3
	v_cndmask_b32_e32 v3, v3, v6, vcc
	v_sqrt_f32_e32 v6, v3
	v_add_u32_e32 v8, -1, v6
	v_fma_f32 v9, -v8, v6, v3
	v_cmp_ge_f32_e64 s[2:3], 0, v9
	v_add_u32_e32 v9, 1, v6
	v_cndmask_b32_e64 v8, v6, v8, s[2:3]
	v_fma_f32 v6, -v9, v6, v3
	v_cmp_lt_f32_e64 s[2:3], 0, v6
	v_cndmask_b32_e64 v6, v8, v9, s[2:3]
	v_mul_f32_e32 v8, 0x37800000, v6
	v_cndmask_b32_e32 v6, v6, v8, vcc
	v_mov_b32_e32 v8, 0x260
	v_cmp_class_f32_e32 vcc, v3, v8
	v_cndmask_b32_e32 v3, v6, v3, vcc
	v_mul_f32_e32 v8, v7, v3
.LBB28_45:
	s_or_b64 exec, exec, s[4:5]
	s_mov_b32 s2, 0xf800000
	v_mul_f32_e32 v3, 0x4f800000, v8
	v_cmp_gt_f32_e32 vcc, s2, v8
	v_cndmask_b32_e32 v3, v8, v3, vcc
	v_sqrt_f32_e32 v6, v3
	v_add_u32_e32 v7, -1, v6
	v_fma_f32 v8, -v7, v6, v3
	v_cmp_ge_f32_e64 s[2:3], 0, v8
	v_add_u32_e32 v8, 1, v6
	v_cndmask_b32_e64 v7, v6, v7, s[2:3]
	v_fma_f32 v6, -v8, v6, v3
	v_cmp_lt_f32_e64 s[2:3], 0, v6
	v_cndmask_b32_e64 v6, v7, v8, s[2:3]
	v_mul_f32_e32 v7, 0x37800000, v6
	v_cndmask_b32_e32 v6, v6, v7, vcc
	v_mov_b32_e32 v7, 0x260
	v_cmp_class_f32_e32 vcc, v3, v7
	v_cndmask_b32_e32 v6, v6, v3, vcc
	v_mov_b32_e32 v7, 0
	v_cmp_eq_f32_e32 vcc, 0, v6
	global_store_dwordx2 v[4:5], v[6:7], off
	s_and_b64 exec, exec, vcc
	s_cbranch_execz .LBB28_50
; %bb.46:
	s_mov_b64 s[2:3], exec
	s_brev_b32 s4, -2
.LBB28_47:                              ; =>This Inner Loop Header: Depth=1
	s_ff1_i32_b64 s5, s[2:3]
	v_readlane_b32 s14, v2, s5
	s_lshl_b64 s[10:11], 1, s5
	s_min_i32 s4, s4, s14
	s_andn2_b64 s[2:3], s[2:3], s[10:11]
	s_cmp_lg_u64 s[2:3], 0
	s_cbranch_scc1 .LBB28_47
; %bb.48:
	v_mbcnt_lo_u32_b32 v2, exec_lo, 0
	v_mbcnt_hi_u32_b32 v2, exec_hi, v2
	v_cmp_eq_u32_e32 vcc, 0, v2
	s_and_saveexec_b64 s[2:3], vcc
	s_xor_b64 s[2:3], exec, s[2:3]
	s_cbranch_execz .LBB28_50
; %bb.49:
	v_mov_b32_e32 v2, 0
	v_mov_b32_e32 v3, s4
	global_atomic_smin v2, v3, s[12:13]
.LBB28_50:
	s_or_b64 exec, exec, s[6:7]
	s_and_b64 exec, exec, s[0:1]
	s_cbranch_execz .LBB28_52
; %bb.51:
	v_mov_b32_e32 v2, s9
	v_add_co_u32_e32 v0, vcc, s8, v0
	v_addc_co_u32_e32 v1, vcc, v2, v1, vcc
	v_mov_b32_e32 v2, 1
	s_waitcnt vmcnt(0)
	global_store_dword v[0:1], v2, off
.LBB28_52:
	s_endpgm
	.section	.rodata,"a",@progbits
	.p2align	6, 0x0
	.amdhsa_kernel _ZN9rocsparseL18csric0_hash_kernelILj256ELj32ELj2E21rocsparse_complex_numIfEEEviPKiS4_PT2_S4_PiS4_S7_S7_d21rocsparse_index_base_
		.amdhsa_group_segment_fixed_size 4096
		.amdhsa_private_segment_fixed_size 0
		.amdhsa_kernarg_size 84
		.amdhsa_user_sgpr_count 6
		.amdhsa_user_sgpr_private_segment_buffer 1
		.amdhsa_user_sgpr_dispatch_ptr 0
		.amdhsa_user_sgpr_queue_ptr 0
		.amdhsa_user_sgpr_kernarg_segment_ptr 1
		.amdhsa_user_sgpr_dispatch_id 0
		.amdhsa_user_sgpr_flat_scratch_init 0
		.amdhsa_user_sgpr_kernarg_preload_length 0
		.amdhsa_user_sgpr_kernarg_preload_offset 0
		.amdhsa_user_sgpr_private_segment_size 0
		.amdhsa_uses_dynamic_stack 0
		.amdhsa_system_sgpr_private_segment_wavefront_offset 0
		.amdhsa_system_sgpr_workgroup_id_x 1
		.amdhsa_system_sgpr_workgroup_id_y 0
		.amdhsa_system_sgpr_workgroup_id_z 0
		.amdhsa_system_sgpr_workgroup_info 0
		.amdhsa_system_vgpr_workitem_id 0
		.amdhsa_next_free_vgpr 38
		.amdhsa_next_free_sgpr 44
		.amdhsa_accum_offset 40
		.amdhsa_reserve_vcc 1
		.amdhsa_reserve_flat_scratch 0
		.amdhsa_float_round_mode_32 0
		.amdhsa_float_round_mode_16_64 0
		.amdhsa_float_denorm_mode_32 3
		.amdhsa_float_denorm_mode_16_64 3
		.amdhsa_dx10_clamp 1
		.amdhsa_ieee_mode 1
		.amdhsa_fp16_overflow 0
		.amdhsa_tg_split 0
		.amdhsa_exception_fp_ieee_invalid_op 0
		.amdhsa_exception_fp_denorm_src 0
		.amdhsa_exception_fp_ieee_div_zero 0
		.amdhsa_exception_fp_ieee_overflow 0
		.amdhsa_exception_fp_ieee_underflow 0
		.amdhsa_exception_fp_ieee_inexact 0
		.amdhsa_exception_int_div_zero 0
	.end_amdhsa_kernel
	.section	.text._ZN9rocsparseL18csric0_hash_kernelILj256ELj32ELj2E21rocsparse_complex_numIfEEEviPKiS4_PT2_S4_PiS4_S7_S7_d21rocsparse_index_base_,"axG",@progbits,_ZN9rocsparseL18csric0_hash_kernelILj256ELj32ELj2E21rocsparse_complex_numIfEEEviPKiS4_PT2_S4_PiS4_S7_S7_d21rocsparse_index_base_,comdat
.Lfunc_end28:
	.size	_ZN9rocsparseL18csric0_hash_kernelILj256ELj32ELj2E21rocsparse_complex_numIfEEEviPKiS4_PT2_S4_PiS4_S7_S7_d21rocsparse_index_base_, .Lfunc_end28-_ZN9rocsparseL18csric0_hash_kernelILj256ELj32ELj2E21rocsparse_complex_numIfEEEviPKiS4_PT2_S4_PiS4_S7_S7_d21rocsparse_index_base_
                                        ; -- End function
	.section	.AMDGPU.csdata,"",@progbits
; Kernel info:
; codeLenInByte = 2508
; NumSgprs: 48
; NumVgprs: 38
; NumAgprs: 0
; TotalNumVgprs: 38
; ScratchSize: 0
; MemoryBound: 0
; FloatMode: 240
; IeeeMode: 1
; LDSByteSize: 4096 bytes/workgroup (compile time only)
; SGPRBlocks: 5
; VGPRBlocks: 4
; NumSGPRsForWavesPerEU: 48
; NumVGPRsForWavesPerEU: 38
; AccumOffset: 40
; Occupancy: 8
; WaveLimiterHint : 1
; COMPUTE_PGM_RSRC2:SCRATCH_EN: 0
; COMPUTE_PGM_RSRC2:USER_SGPR: 6
; COMPUTE_PGM_RSRC2:TRAP_HANDLER: 0
; COMPUTE_PGM_RSRC2:TGID_X_EN: 1
; COMPUTE_PGM_RSRC2:TGID_Y_EN: 0
; COMPUTE_PGM_RSRC2:TGID_Z_EN: 0
; COMPUTE_PGM_RSRC2:TIDIG_COMP_CNT: 0
; COMPUTE_PGM_RSRC3_GFX90A:ACCUM_OFFSET: 9
; COMPUTE_PGM_RSRC3_GFX90A:TG_SPLIT: 0
	.section	.text._ZN9rocsparseL18csric0_hash_kernelILj256ELj32ELj4E21rocsparse_complex_numIfEEEviPKiS4_PT2_S4_PiS4_S7_S7_d21rocsparse_index_base_,"axG",@progbits,_ZN9rocsparseL18csric0_hash_kernelILj256ELj32ELj4E21rocsparse_complex_numIfEEEviPKiS4_PT2_S4_PiS4_S7_S7_d21rocsparse_index_base_,comdat
	.globl	_ZN9rocsparseL18csric0_hash_kernelILj256ELj32ELj4E21rocsparse_complex_numIfEEEviPKiS4_PT2_S4_PiS4_S7_S7_d21rocsparse_index_base_ ; -- Begin function _ZN9rocsparseL18csric0_hash_kernelILj256ELj32ELj4E21rocsparse_complex_numIfEEEviPKiS4_PT2_S4_PiS4_S7_S7_d21rocsparse_index_base_
	.p2align	8
	.type	_ZN9rocsparseL18csric0_hash_kernelILj256ELj32ELj4E21rocsparse_complex_numIfEEEviPKiS4_PT2_S4_PiS4_S7_S7_d21rocsparse_index_base_,@function
_ZN9rocsparseL18csric0_hash_kernelILj256ELj32ELj4E21rocsparse_complex_numIfEEEviPKiS4_PT2_S4_PiS4_S7_S7_d21rocsparse_index_base_: ; @_ZN9rocsparseL18csric0_hash_kernelILj256ELj32ELj4E21rocsparse_complex_numIfEEEviPKiS4_PT2_S4_PiS4_S7_S7_d21rocsparse_index_base_
; %bb.0:
	s_load_dword s0, s[4:5], 0x0
	v_lshlrev_b32_e32 v1, 2, v0
	s_lshl_b32 s1, s6, 3
	v_and_b32_e32 v5, 31, v0
	v_and_b32_e32 v6, 0x380, v1
	v_mov_b32_e32 v1, 0x1000
	v_lshrrev_b32_e32 v0, 5, v0
	s_and_b32 s1, s1, 0x7fffff8
	v_lshl_or_b32 v22, v6, 2, v1
	v_or_b32_e32 v0, s1, v0
	v_lshl_or_b32 v1, v5, 2, v22
	v_mov_b32_e32 v2, -1
	s_waitcnt lgkmcnt(0)
	v_cmp_gt_i32_e32 vcc, s0, v0
	ds_write2_b32 v1, v2, v2 offset1:32
	ds_write2_b32 v1, v2, v2 offset0:64 offset1:96
	s_waitcnt lgkmcnt(0)
	s_and_saveexec_b64 s[0:1], vcc
	s_cbranch_execz .LBB29_52
; %bb.1:
	s_load_dwordx8 s[8:15], s[4:5], 0x28
	v_lshlrev_b32_e32 v0, 2, v0
	s_load_dwordx8 s[16:23], s[4:5], 0x8
	s_load_dword s33, s[4:5], 0x50
	s_waitcnt lgkmcnt(0)
	global_load_dword v2, v0, s[10:11]
	v_mov_b32_e32 v7, s17
	v_mov_b32_e32 v4, s23
	s_waitcnt vmcnt(0)
	v_ashrrev_i32_e32 v3, 31, v2
	v_lshlrev_b64 v[0:1], 2, v[2:3]
	v_add_co_u32_e32 v8, vcc, s16, v0
	v_addc_co_u32_e32 v9, vcc, v7, v1, vcc
	global_load_dwordx2 v[8:9], v[8:9], off
	v_add_co_u32_e32 v10, vcc, s22, v0
	v_addc_co_u32_e32 v11, vcc, v4, v1, vcc
	global_load_dword v4, v[10:11], off
	v_lshlrev_b32_e32 v3, 2, v6
	s_waitcnt vmcnt(1)
	v_subrev_u32_e32 v6, s33, v8
	v_subrev_u32_e32 v7, s33, v9
	v_add_u32_e32 v8, v6, v5
	v_cmp_lt_i32_e32 vcc, v8, v7
	s_and_saveexec_b64 s[0:1], vcc
	s_cbranch_execz .LBB29_11
; %bb.2:
	s_mov_b64 s[2:3], 0
	v_mov_b32_e32 v10, s19
	s_movk_i32 s34, 0x67
	v_mov_b32_e32 v11, -1
	s_branch .LBB29_4
.LBB29_3:                               ;   in Loop: Header=BB29_4 Depth=1
	s_or_b64 exec, exec, s[6:7]
	v_add_u32_e32 v8, 32, v8
	v_cmp_ge_i32_e32 vcc, v8, v7
	s_or_b64 s[2:3], vcc, s[2:3]
	s_andn2_b64 exec, exec, s[2:3]
	s_cbranch_execz .LBB29_11
.LBB29_4:                               ; =>This Loop Header: Depth=1
                                        ;     Child Loop BB29_7 Depth 2
	v_ashrrev_i32_e32 v9, 31, v8
	v_lshlrev_b64 v[12:13], 2, v[8:9]
	v_add_co_u32_e32 v12, vcc, s18, v12
	v_addc_co_u32_e32 v13, vcc, v10, v13, vcc
	global_load_dword v9, v[12:13], off
	s_waitcnt vmcnt(0)
	v_mul_lo_u32 v12, v9, s34
	v_and_b32_e32 v12, 0x7f, v12
	v_lshl_add_u32 v13, v12, 2, v22
	ds_read_b32 v14, v13
	s_waitcnt lgkmcnt(0)
	v_cmp_ne_u32_e32 vcc, v14, v9
	s_and_saveexec_b64 s[6:7], vcc
	s_cbranch_execz .LBB29_3
; %bb.5:                                ;   in Loop: Header=BB29_4 Depth=1
	s_mov_b64 s[10:11], 0
                                        ; implicit-def: $sgpr24_sgpr25
                                        ; implicit-def: $sgpr28_sgpr29
                                        ; implicit-def: $sgpr26_sgpr27
	s_branch .LBB29_7
.LBB29_6:                               ;   in Loop: Header=BB29_7 Depth=2
	s_or_b64 exec, exec, s[30:31]
	s_and_b64 s[30:31], exec, s[28:29]
	s_or_b64 s[10:11], s[30:31], s[10:11]
	s_andn2_b64 s[24:25], s[24:25], exec
	s_and_b64 s[30:31], s[26:27], exec
	s_or_b64 s[24:25], s[24:25], s[30:31]
	s_andn2_b64 exec, exec, s[10:11]
	s_cbranch_execz .LBB29_9
.LBB29_7:                               ;   Parent Loop BB29_4 Depth=1
                                        ; =>  This Inner Loop Header: Depth=2
	ds_cmpst_rtn_b32 v13, v13, v11, v9
	v_mov_b32_e32 v14, v12
	s_or_b64 s[26:27], s[26:27], exec
	s_or_b64 s[28:29], s[28:29], exec
                                        ; implicit-def: $vgpr12
	s_waitcnt lgkmcnt(0)
	v_cmp_ne_u32_e32 vcc, -1, v13
                                        ; implicit-def: $vgpr13
	s_and_saveexec_b64 s[30:31], vcc
	s_cbranch_execz .LBB29_6
; %bb.8:                                ;   in Loop: Header=BB29_7 Depth=2
	v_add_u32_e32 v12, 1, v14
	v_and_b32_e32 v12, 0x7f, v12
	v_lshl_add_u32 v13, v12, 2, v22
	ds_read_b32 v15, v13
	s_andn2_b64 s[28:29], s[28:29], exec
	s_andn2_b64 s[26:27], s[26:27], exec
	s_waitcnt lgkmcnt(0)
	v_cmp_eq_u32_e32 vcc, v15, v9
	s_and_b64 s[36:37], vcc, exec
	s_or_b64 s[28:29], s[28:29], s[36:37]
	s_branch .LBB29_6
.LBB29_9:                               ;   in Loop: Header=BB29_4 Depth=1
	s_or_b64 exec, exec, s[10:11]
	s_and_saveexec_b64 s[10:11], s[24:25]
	s_xor_b64 s[10:11], exec, s[10:11]
	s_cbranch_execz .LBB29_3
; %bb.10:                               ;   in Loop: Header=BB29_4 Depth=1
	v_lshl_add_u32 v9, v14, 2, v3
	ds_write_b32 v9, v8
	s_branch .LBB29_3
.LBB29_11:
	s_or_b64 exec, exec, s[0:1]
	v_mov_b32_e32 v9, 0
	s_waitcnt vmcnt(0)
	v_cmp_lt_i32_e32 vcc, v6, v4
	v_mov_b32_e32 v8, v9
	s_waitcnt lgkmcnt(0)
	s_and_saveexec_b64 s[6:7], vcc
	s_cbranch_execz .LBB29_33
; %bb.12:
	v_mov_b32_e32 v8, 0
	v_add_u32_e32 v23, -1, v4
	v_subrev_u32_e32 v24, s33, v5
	v_cmp_eq_u32_e64 s[0:1], 31, v5
	s_mov_b64 s[10:11], 0
	v_mov_b32_e32 v25, s19
	v_mov_b32_e32 v26, s21
	;; [unrolled: 1-line block ×5, first 2 shown]
	s_movk_i32 s17, 0x67
	v_mov_b32_e32 v9, v8
	s_branch .LBB29_15
.LBB29_13:                              ;   in Loop: Header=BB29_15 Depth=1
	s_or_b64 exec, exec, s[24:25]
	v_add_u32_e32 v6, 1, v6
	v_cmp_ge_i32_e32 vcc, v6, v4
	s_orn2_b64 s[24:25], vcc, exec
.LBB29_14:                              ;   in Loop: Header=BB29_15 Depth=1
	s_or_b64 exec, exec, s[2:3]
	s_and_b64 s[2:3], exec, s[24:25]
	s_or_b64 s[10:11], s[2:3], s[10:11]
	s_andn2_b64 exec, exec, s[10:11]
	s_cbranch_execz .LBB29_32
.LBB29_15:                              ; =>This Loop Header: Depth=1
                                        ;     Child Loop BB29_16 Depth 2
                                        ;     Child Loop BB29_22 Depth 2
                                        ;       Child Loop BB29_25 Depth 3
	v_ashrrev_i32_e32 v7, 31, v6
	v_lshlrev_b64 v[10:11], 2, v[6:7]
	v_add_co_u32_e32 v10, vcc, s18, v10
	v_addc_co_u32_e32 v11, vcc, v25, v11, vcc
	global_load_dword v14, v[10:11], off
	v_lshlrev_b64 v[10:11], 3, v[6:7]
	v_add_co_u32_e32 v10, vcc, s20, v10
	v_addc_co_u32_e32 v11, vcc, v26, v11, vcc
	global_load_dwordx2 v[12:13], v[10:11], off
	s_mov_b64 s[2:3], 0
	s_waitcnt vmcnt(1)
	v_subrev_u32_e32 v14, s33, v14
	v_ashrrev_i32_e32 v15, 31, v14
	v_lshlrev_b64 v[14:15], 2, v[14:15]
	v_add_co_u32_e32 v18, vcc, s16, v14
	v_addc_co_u32_e32 v19, vcc, v27, v15, vcc
	v_add_co_u32_e32 v20, vcc, s22, v14
	v_addc_co_u32_e32 v21, vcc, v28, v15, vcc
	global_load_dword v7, v[18:19], off
	global_load_dword v16, v[20:21], off
	v_add_co_u32_e32 v14, vcc, s8, v14
	v_addc_co_u32_e32 v15, vcc, v29, v15, vcc
.LBB29_16:                              ;   Parent Loop BB29_15 Depth=1
                                        ; =>  This Inner Loop Header: Depth=2
	global_load_dword v17, v[14:15], off glc
	s_waitcnt vmcnt(0)
	v_cmp_ne_u32_e32 vcc, 0, v17
	s_or_b64 s[2:3], vcc, s[2:3]
	s_andn2_b64 exec, exec, s[2:3]
	s_cbranch_execnz .LBB29_16
; %bb.17:                               ;   in Loop: Header=BB29_15 Depth=1
	s_or_b64 exec, exec, s[2:3]
	v_cmp_eq_u32_e32 vcc, -1, v16
	v_cndmask_b32_e32 v16, v16, v23, vcc
	v_ashrrev_i32_e32 v17, 31, v16
	v_lshlrev_b64 v[14:15], 3, v[16:17]
	v_add_co_u32_e32 v14, vcc, s20, v14
	v_addc_co_u32_e32 v15, vcc, v26, v15, vcc
	buffer_wbinvl1_vol
	global_load_dwordx2 v[14:15], v[14:15], off
	s_mov_b64 s[24:25], -1
	s_waitcnt vmcnt(0)
	v_cmp_neq_f32_e32 vcc, 0, v14
	v_cmp_neq_f32_e64 s[2:3], 0, v15
	s_or_b64 s[26:27], vcc, s[2:3]
	s_and_saveexec_b64 s[2:3], s[26:27]
	s_cbranch_execz .LBB29_14
; %bb.18:                               ;   in Loop: Header=BB29_15 Depth=1
	v_add_u32_e32 v20, v24, v7
	v_mov_b32_e32 v19, 0
	v_cmp_lt_i32_e32 vcc, v20, v16
	v_mov_b32_e32 v18, v19
	s_and_saveexec_b64 s[24:25], vcc
	s_cbranch_execz .LBB29_30
; %bb.19:                               ;   in Loop: Header=BB29_15 Depth=1
	v_mov_b32_e32 v18, 0
	s_mov_b64 s[26:27], 0
	v_mov_b32_e32 v19, v18
	s_branch .LBB29_22
.LBB29_20:                              ;   in Loop: Header=BB29_22 Depth=2
	s_or_b64 exec, exec, s[30:31]
.LBB29_21:                              ;   in Loop: Header=BB29_22 Depth=2
	s_or_b64 exec, exec, s[28:29]
	v_add_u32_e32 v20, 32, v20
	v_cmp_ge_i32_e32 vcc, v20, v16
	s_or_b64 s[26:27], vcc, s[26:27]
	s_andn2_b64 exec, exec, s[26:27]
	s_cbranch_execz .LBB29_29
.LBB29_22:                              ;   Parent Loop BB29_15 Depth=1
                                        ; =>  This Loop Header: Depth=2
                                        ;       Child Loop BB29_25 Depth 3
	v_ashrrev_i32_e32 v21, 31, v20
	v_lshlrev_b64 v[30:31], 2, v[20:21]
	v_add_co_u32_e32 v30, vcc, s18, v30
	v_addc_co_u32_e32 v31, vcc, v25, v31, vcc
	global_load_dword v7, v[30:31], off
	s_waitcnt vmcnt(0)
	v_mul_lo_u32 v17, v7, s17
	v_and_b32_e32 v31, 0x7f, v17
	v_lshl_add_u32 v17, v31, 2, v22
	ds_read_b32 v30, v17
	s_waitcnt lgkmcnt(0)
	v_cmp_ne_u32_e32 vcc, -1, v30
	s_and_saveexec_b64 s[28:29], vcc
	s_cbranch_execz .LBB29_21
; %bb.23:                               ;   in Loop: Header=BB29_22 Depth=2
	s_mov_b64 s[34:35], 0
                                        ; implicit-def: $sgpr30_sgpr31
                                        ; implicit-def: $sgpr38_sgpr39
                                        ; implicit-def: $sgpr36_sgpr37
	s_branch .LBB29_25
.LBB29_24:                              ;   in Loop: Header=BB29_25 Depth=3
	s_or_b64 exec, exec, s[40:41]
	s_and_b64 s[40:41], exec, s[38:39]
	s_or_b64 s[34:35], s[40:41], s[34:35]
	s_andn2_b64 s[30:31], s[30:31], exec
	s_and_b64 s[40:41], s[36:37], exec
	s_or_b64 s[30:31], s[30:31], s[40:41]
	s_andn2_b64 exec, exec, s[34:35]
	s_cbranch_execz .LBB29_27
.LBB29_25:                              ;   Parent Loop BB29_15 Depth=1
                                        ;     Parent Loop BB29_22 Depth=2
                                        ; =>    This Inner Loop Header: Depth=3
	v_mov_b32_e32 v17, v31
	v_cmp_ne_u32_e32 vcc, v30, v7
	s_or_b64 s[36:37], s[36:37], exec
	s_or_b64 s[38:39], s[38:39], exec
                                        ; implicit-def: $vgpr31
                                        ; implicit-def: $vgpr30
	s_and_saveexec_b64 s[40:41], vcc
	s_cbranch_execz .LBB29_24
; %bb.26:                               ;   in Loop: Header=BB29_25 Depth=3
	v_add_u32_e32 v30, 1, v17
	v_and_b32_e32 v31, 0x7f, v30
	v_lshl_add_u32 v30, v31, 2, v22
	ds_read_b32 v30, v30
	s_andn2_b64 s[38:39], s[38:39], exec
	s_andn2_b64 s[36:37], s[36:37], exec
	s_waitcnt lgkmcnt(0)
	v_cmp_eq_u32_e32 vcc, -1, v30
	s_and_b64 s[42:43], vcc, exec
	s_or_b64 s[38:39], s[38:39], s[42:43]
	s_branch .LBB29_24
.LBB29_27:                              ;   in Loop: Header=BB29_22 Depth=2
	s_or_b64 exec, exec, s[34:35]
	s_and_saveexec_b64 s[34:35], s[30:31]
	s_xor_b64 s[30:31], exec, s[34:35]
	s_cbranch_execz .LBB29_20
; %bb.28:                               ;   in Loop: Header=BB29_22 Depth=2
	v_lshl_add_u32 v7, v17, 2, v3
	ds_read_b32 v30, v7
	v_lshlrev_b64 v[32:33], 3, v[20:21]
	v_mov_b32_e32 v7, s21
	v_add_co_u32_e32 v32, vcc, s20, v32
	s_waitcnt lgkmcnt(0)
	v_ashrrev_i32_e32 v31, 31, v30
	v_addc_co_u32_e32 v33, vcc, v7, v33, vcc
	v_lshlrev_b64 v[30:31], 3, v[30:31]
	v_add_co_u32_e32 v30, vcc, s20, v30
	v_addc_co_u32_e32 v31, vcc, v7, v31, vcc
	global_load_dwordx2 v[34:35], v[30:31], off
	global_load_dwordx2 v[36:37], v[32:33], off
	s_waitcnt vmcnt(0)
	v_pk_fma_f32 v[18:19], v[36:37], v[34:35], v[18:19] op_sel:[1,0,0] op_sel_hi:[0,0,1]
	v_pk_fma_f32 v[18:19], v[36:37], v[34:35], v[18:19] op_sel:[0,1,0] neg_lo:[0,1,0]
	s_branch .LBB29_20
.LBB29_29:                              ;   in Loop: Header=BB29_15 Depth=1
	s_or_b64 exec, exec, s[26:27]
.LBB29_30:                              ;   in Loop: Header=BB29_15 Depth=1
	s_or_b64 exec, exec, s[24:25]
	v_mov_b32_e32 v16, v19
	v_mov_b32_e32 v17, v18
	v_mov_b32_dpp v20, v19 row_shr:1 row_mask:0xf bank_mask:0xf
	v_mov_b32_dpp v21, v18 row_shr:1 row_mask:0xf bank_mask:0xf
	v_pk_add_f32 v[16:17], v[16:17], v[20:21]
	s_nop 1
	v_mov_b32_dpp v18, v16 row_shr:2 row_mask:0xf bank_mask:0xf
	v_mov_b32_dpp v19, v17 row_shr:2 row_mask:0xf bank_mask:0xf
	v_pk_add_f32 v[16:17], v[16:17], v[18:19]
	s_nop 1
	;; [unrolled: 4-line block ×4, first 2 shown]
	v_mov_b32_dpp v18, v16 row_bcast:15 row_mask:0xa bank_mask:0xf
	v_mov_b32_dpp v19, v17 row_bcast:15 row_mask:0xa bank_mask:0xf
	s_and_saveexec_b64 s[24:25], s[0:1]
	s_cbranch_execz .LBB29_13
; %bb.31:                               ;   in Loop: Header=BB29_15 Depth=1
	v_mul_f32_e32 v7, v15, v15
	v_fmac_f32_e32 v7, v14, v14
	v_div_scale_f32 v20, s[26:27], v7, v7, 1.0
	v_rcp_f32_e32 v21, v20
	v_div_scale_f32 v30, vcc, 1.0, v7, 1.0
	v_pk_add_f32 v[16:17], v[16:17], v[18:19]
	v_fma_f32 v31, -v20, v21, 1.0
	v_fmac_f32_e32 v21, v31, v21
	v_mul_f32_e32 v31, v30, v21
	v_fma_f32 v32, -v20, v31, v30
	v_fmac_f32_e32 v31, v32, v21
	v_fma_f32 v20, -v20, v31, v30
	v_div_fmas_f32 v20, v20, v21, v31
	v_div_fixup_f32 v7, v20, v7, 1.0
	v_fma_f32 v20, 0, v15, v14
	v_fma_f32 v14, v14, 0, -v15
	v_mul_f32_e32 v14, v14, v7
	v_pk_add_f32 v[12:13], v[12:13], v[16:17] neg_lo:[0,1] neg_hi:[0,1]
	v_mul_f32_e32 v20, v20, v7
	v_pk_mul_f32 v[14:15], v[14:15], v[12:13] op_sel:[0,1] op_sel_hi:[0,0] neg_lo:[0,1]
	v_pk_fma_f32 v[12:13], v[12:13], v[20:21], v[14:15] op_sel_hi:[1,0,1]
	v_xor_b32_e32 v14, 0x80000000, v13
	v_pk_fma_f32 v[8:9], v[12:13], v[12:13], v[8:9] op_sel:[1,0,0] op_sel_hi:[0,0,1]
	v_mov_b32_e32 v15, v13
	v_pk_fma_f32 v[8:9], v[12:13], v[14:15], v[8:9]
	global_store_dwordx2 v[10:11], v[12:13], off
	s_branch .LBB29_13
.LBB29_32:
	s_or_b64 exec, exec, s[10:11]
.LBB29_33:
	s_or_b64 exec, exec, s[6:7]
	v_cmp_eq_u32_e64 s[0:1], 31, v5
	v_cmp_lt_i32_e32 vcc, -1, v4
	s_and_b64 s[2:3], s[0:1], vcc
	s_and_saveexec_b64 s[6:7], s[2:3]
	s_cbranch_execz .LBB29_50
; %bb.34:
	v_mov_b32_e32 v5, 0
	v_lshlrev_b64 v[4:5], 3, v[4:5]
	v_mov_b32_e32 v3, s21
	v_add_co_u32_e32 v4, vcc, s20, v4
	v_addc_co_u32_e32 v5, vcc, v3, v5, vcc
	global_load_dwordx2 v[6:7], v[4:5], off
	s_load_dwordx2 s[2:3], s[4:5], 0x48
	v_add_u32_e32 v2, s33, v2
	s_waitcnt lgkmcnt(0)
	v_mul_f64 v[10:11], s[2:3], s[2:3]
	s_waitcnt vmcnt(0)
	v_pk_add_f32 v[6:7], v[6:7], v[8:9] op_sel:[1,0] op_sel_hi:[0,1] neg_lo:[0,1] neg_hi:[0,1]
	v_cvt_f64_f32_e32 v[8:9], v7
	v_cmp_eq_f32_e32 vcc, 0, v6
	v_cmp_ge_f64_e64 s[2:3], v[10:11], v[8:9]
	s_and_b64 s[4:5], s[2:3], vcc
	s_and_saveexec_b64 s[2:3], s[4:5]
	s_cbranch_execz .LBB29_39
; %bb.35:
	s_mov_b64 s[4:5], exec
	s_brev_b32 s10, -2
.LBB29_36:                              ; =>This Inner Loop Header: Depth=1
	s_ff1_i32_b64 s11, s[4:5]
	v_readlane_b32 s18, v2, s11
	s_lshl_b64 s[16:17], 1, s11
	s_min_i32 s10, s10, s18
	s_andn2_b64 s[4:5], s[4:5], s[16:17]
	s_cmp_lg_u64 s[4:5], 0
	s_cbranch_scc1 .LBB29_36
; %bb.37:
	v_mbcnt_lo_u32_b32 v3, exec_lo, 0
	v_mbcnt_hi_u32_b32 v3, exec_hi, v3
	v_cmp_eq_u32_e32 vcc, 0, v3
	s_and_saveexec_b64 s[4:5], vcc
	s_xor_b64 s[4:5], exec, s[4:5]
	s_cbranch_execz .LBB29_39
; %bb.38:
	v_mov_b32_e32 v3, 0
	v_mov_b32_e32 v8, s10
	global_atomic_smin v3, v8, s[14:15]
.LBB29_39:
	s_or_b64 exec, exec, s[2:3]
	v_cmp_gt_f32_e32 vcc, 0, v6
	v_cndmask_b32_e64 v3, v6, -v6, vcc
	v_cmp_gt_f32_e32 vcc, 0, v7
	v_cndmask_b32_e64 v7, v7, -v7, vcc
	v_cmp_ngt_f32_e32 vcc, v7, v3
                                        ; implicit-def: $vgpr8
	s_and_saveexec_b64 s[2:3], vcc
	s_xor_b64 s[4:5], exec, s[2:3]
	s_cbranch_execz .LBB29_43
; %bb.40:
	v_cmp_neq_f32_e32 vcc, 0, v6
	v_mov_b32_e32 v8, 0
	s_and_saveexec_b64 s[10:11], vcc
	s_cbranch_execz .LBB29_42
; %bb.41:
	v_div_scale_f32 v6, s[2:3], v3, v3, v7
	v_rcp_f32_e32 v8, v6
	v_div_scale_f32 v9, vcc, v7, v3, v7
	s_mov_b32 s2, 0xf800000
	v_fma_f32 v10, -v6, v8, 1.0
	v_fmac_f32_e32 v8, v10, v8
	v_mul_f32_e32 v10, v9, v8
	v_fma_f32 v11, -v6, v10, v9
	v_fmac_f32_e32 v10, v11, v8
	v_fma_f32 v6, -v6, v10, v9
	v_div_fmas_f32 v6, v6, v8, v10
	v_div_fixup_f32 v6, v6, v3, v7
	v_fma_f32 v6, v6, v6, 1.0
	v_mul_f32_e32 v7, 0x4f800000, v6
	v_cmp_gt_f32_e32 vcc, s2, v6
	v_cndmask_b32_e32 v6, v6, v7, vcc
	v_sqrt_f32_e32 v7, v6
	v_add_u32_e32 v8, -1, v7
	v_fma_f32 v9, -v8, v7, v6
	v_cmp_ge_f32_e64 s[2:3], 0, v9
	v_add_u32_e32 v9, 1, v7
	v_cndmask_b32_e64 v8, v7, v8, s[2:3]
	v_fma_f32 v7, -v9, v7, v6
	v_cmp_lt_f32_e64 s[2:3], 0, v7
	v_cndmask_b32_e64 v7, v8, v9, s[2:3]
	v_mul_f32_e32 v8, 0x37800000, v7
	v_cndmask_b32_e32 v7, v7, v8, vcc
	v_mov_b32_e32 v8, 0x260
	v_cmp_class_f32_e32 vcc, v6, v8
	v_cndmask_b32_e32 v6, v7, v6, vcc
	v_mul_f32_e32 v8, v3, v6
.LBB29_42:
	s_or_b64 exec, exec, s[10:11]
                                        ; implicit-def: $vgpr7
                                        ; implicit-def: $vgpr3
.LBB29_43:
	s_andn2_saveexec_b64 s[4:5], s[4:5]
	s_cbranch_execz .LBB29_45
; %bb.44:
	v_div_scale_f32 v6, s[2:3], v7, v7, v3
	v_rcp_f32_e32 v8, v6
	v_div_scale_f32 v9, vcc, v3, v7, v3
	s_mov_b32 s2, 0xf800000
	v_fma_f32 v10, -v6, v8, 1.0
	v_fmac_f32_e32 v8, v10, v8
	v_mul_f32_e32 v10, v9, v8
	v_fma_f32 v11, -v6, v10, v9
	v_fmac_f32_e32 v10, v11, v8
	v_fma_f32 v6, -v6, v10, v9
	v_div_fmas_f32 v6, v6, v8, v10
	v_div_fixup_f32 v3, v6, v7, v3
	v_fma_f32 v3, v3, v3, 1.0
	v_mul_f32_e32 v6, 0x4f800000, v3
	v_cmp_gt_f32_e32 vcc, s2, v3
	v_cndmask_b32_e32 v3, v3, v6, vcc
	v_sqrt_f32_e32 v6, v3
	v_add_u32_e32 v8, -1, v6
	v_fma_f32 v9, -v8, v6, v3
	v_cmp_ge_f32_e64 s[2:3], 0, v9
	v_add_u32_e32 v9, 1, v6
	v_cndmask_b32_e64 v8, v6, v8, s[2:3]
	v_fma_f32 v6, -v9, v6, v3
	v_cmp_lt_f32_e64 s[2:3], 0, v6
	v_cndmask_b32_e64 v6, v8, v9, s[2:3]
	v_mul_f32_e32 v8, 0x37800000, v6
	v_cndmask_b32_e32 v6, v6, v8, vcc
	v_mov_b32_e32 v8, 0x260
	v_cmp_class_f32_e32 vcc, v3, v8
	v_cndmask_b32_e32 v3, v6, v3, vcc
	v_mul_f32_e32 v8, v7, v3
.LBB29_45:
	s_or_b64 exec, exec, s[4:5]
	s_mov_b32 s2, 0xf800000
	v_mul_f32_e32 v3, 0x4f800000, v8
	v_cmp_gt_f32_e32 vcc, s2, v8
	v_cndmask_b32_e32 v3, v8, v3, vcc
	v_sqrt_f32_e32 v6, v3
	v_add_u32_e32 v7, -1, v6
	v_fma_f32 v8, -v7, v6, v3
	v_cmp_ge_f32_e64 s[2:3], 0, v8
	v_add_u32_e32 v8, 1, v6
	v_cndmask_b32_e64 v7, v6, v7, s[2:3]
	v_fma_f32 v6, -v8, v6, v3
	v_cmp_lt_f32_e64 s[2:3], 0, v6
	v_cndmask_b32_e64 v6, v7, v8, s[2:3]
	v_mul_f32_e32 v7, 0x37800000, v6
	v_cndmask_b32_e32 v6, v6, v7, vcc
	v_mov_b32_e32 v7, 0x260
	v_cmp_class_f32_e32 vcc, v3, v7
	v_cndmask_b32_e32 v6, v6, v3, vcc
	v_mov_b32_e32 v7, 0
	v_cmp_eq_f32_e32 vcc, 0, v6
	global_store_dwordx2 v[4:5], v[6:7], off
	s_and_b64 exec, exec, vcc
	s_cbranch_execz .LBB29_50
; %bb.46:
	s_mov_b64 s[2:3], exec
	s_brev_b32 s4, -2
.LBB29_47:                              ; =>This Inner Loop Header: Depth=1
	s_ff1_i32_b64 s5, s[2:3]
	v_readlane_b32 s14, v2, s5
	s_lshl_b64 s[10:11], 1, s5
	s_min_i32 s4, s4, s14
	s_andn2_b64 s[2:3], s[2:3], s[10:11]
	s_cmp_lg_u64 s[2:3], 0
	s_cbranch_scc1 .LBB29_47
; %bb.48:
	v_mbcnt_lo_u32_b32 v2, exec_lo, 0
	v_mbcnt_hi_u32_b32 v2, exec_hi, v2
	v_cmp_eq_u32_e32 vcc, 0, v2
	s_and_saveexec_b64 s[2:3], vcc
	s_xor_b64 s[2:3], exec, s[2:3]
	s_cbranch_execz .LBB29_50
; %bb.49:
	v_mov_b32_e32 v2, 0
	v_mov_b32_e32 v3, s4
	global_atomic_smin v2, v3, s[12:13]
.LBB29_50:
	s_or_b64 exec, exec, s[6:7]
	s_and_b64 exec, exec, s[0:1]
	s_cbranch_execz .LBB29_52
; %bb.51:
	v_mov_b32_e32 v2, s9
	v_add_co_u32_e32 v0, vcc, s8, v0
	v_addc_co_u32_e32 v1, vcc, v2, v1, vcc
	v_mov_b32_e32 v2, 1
	s_waitcnt vmcnt(0)
	global_store_dword v[0:1], v2, off
.LBB29_52:
	s_endpgm
	.section	.rodata,"a",@progbits
	.p2align	6, 0x0
	.amdhsa_kernel _ZN9rocsparseL18csric0_hash_kernelILj256ELj32ELj4E21rocsparse_complex_numIfEEEviPKiS4_PT2_S4_PiS4_S7_S7_d21rocsparse_index_base_
		.amdhsa_group_segment_fixed_size 8192
		.amdhsa_private_segment_fixed_size 0
		.amdhsa_kernarg_size 84
		.amdhsa_user_sgpr_count 6
		.amdhsa_user_sgpr_private_segment_buffer 1
		.amdhsa_user_sgpr_dispatch_ptr 0
		.amdhsa_user_sgpr_queue_ptr 0
		.amdhsa_user_sgpr_kernarg_segment_ptr 1
		.amdhsa_user_sgpr_dispatch_id 0
		.amdhsa_user_sgpr_flat_scratch_init 0
		.amdhsa_user_sgpr_kernarg_preload_length 0
		.amdhsa_user_sgpr_kernarg_preload_offset 0
		.amdhsa_user_sgpr_private_segment_size 0
		.amdhsa_uses_dynamic_stack 0
		.amdhsa_system_sgpr_private_segment_wavefront_offset 0
		.amdhsa_system_sgpr_workgroup_id_x 1
		.amdhsa_system_sgpr_workgroup_id_y 0
		.amdhsa_system_sgpr_workgroup_id_z 0
		.amdhsa_system_sgpr_workgroup_info 0
		.amdhsa_system_vgpr_workitem_id 0
		.amdhsa_next_free_vgpr 38
		.amdhsa_next_free_sgpr 44
		.amdhsa_accum_offset 40
		.amdhsa_reserve_vcc 1
		.amdhsa_reserve_flat_scratch 0
		.amdhsa_float_round_mode_32 0
		.amdhsa_float_round_mode_16_64 0
		.amdhsa_float_denorm_mode_32 3
		.amdhsa_float_denorm_mode_16_64 3
		.amdhsa_dx10_clamp 1
		.amdhsa_ieee_mode 1
		.amdhsa_fp16_overflow 0
		.amdhsa_tg_split 0
		.amdhsa_exception_fp_ieee_invalid_op 0
		.amdhsa_exception_fp_denorm_src 0
		.amdhsa_exception_fp_ieee_div_zero 0
		.amdhsa_exception_fp_ieee_overflow 0
		.amdhsa_exception_fp_ieee_underflow 0
		.amdhsa_exception_fp_ieee_inexact 0
		.amdhsa_exception_int_div_zero 0
	.end_amdhsa_kernel
	.section	.text._ZN9rocsparseL18csric0_hash_kernelILj256ELj32ELj4E21rocsparse_complex_numIfEEEviPKiS4_PT2_S4_PiS4_S7_S7_d21rocsparse_index_base_,"axG",@progbits,_ZN9rocsparseL18csric0_hash_kernelILj256ELj32ELj4E21rocsparse_complex_numIfEEEviPKiS4_PT2_S4_PiS4_S7_S7_d21rocsparse_index_base_,comdat
.Lfunc_end29:
	.size	_ZN9rocsparseL18csric0_hash_kernelILj256ELj32ELj4E21rocsparse_complex_numIfEEEviPKiS4_PT2_S4_PiS4_S7_S7_d21rocsparse_index_base_, .Lfunc_end29-_ZN9rocsparseL18csric0_hash_kernelILj256ELj32ELj4E21rocsparse_complex_numIfEEEviPKiS4_PT2_S4_PiS4_S7_S7_d21rocsparse_index_base_
                                        ; -- End function
	.section	.AMDGPU.csdata,"",@progbits
; Kernel info:
; codeLenInByte = 2540
; NumSgprs: 48
; NumVgprs: 38
; NumAgprs: 0
; TotalNumVgprs: 38
; ScratchSize: 0
; MemoryBound: 0
; FloatMode: 240
; IeeeMode: 1
; LDSByteSize: 8192 bytes/workgroup (compile time only)
; SGPRBlocks: 5
; VGPRBlocks: 4
; NumSGPRsForWavesPerEU: 48
; NumVGPRsForWavesPerEU: 38
; AccumOffset: 40
; Occupancy: 8
; WaveLimiterHint : 1
; COMPUTE_PGM_RSRC2:SCRATCH_EN: 0
; COMPUTE_PGM_RSRC2:USER_SGPR: 6
; COMPUTE_PGM_RSRC2:TRAP_HANDLER: 0
; COMPUTE_PGM_RSRC2:TGID_X_EN: 1
; COMPUTE_PGM_RSRC2:TGID_Y_EN: 0
; COMPUTE_PGM_RSRC2:TGID_Z_EN: 0
; COMPUTE_PGM_RSRC2:TIDIG_COMP_CNT: 0
; COMPUTE_PGM_RSRC3_GFX90A:ACCUM_OFFSET: 9
; COMPUTE_PGM_RSRC3_GFX90A:TG_SPLIT: 0
	.section	.text._ZN9rocsparseL18csric0_hash_kernelILj256ELj32ELj8E21rocsparse_complex_numIfEEEviPKiS4_PT2_S4_PiS4_S7_S7_d21rocsparse_index_base_,"axG",@progbits,_ZN9rocsparseL18csric0_hash_kernelILj256ELj32ELj8E21rocsparse_complex_numIfEEEviPKiS4_PT2_S4_PiS4_S7_S7_d21rocsparse_index_base_,comdat
	.globl	_ZN9rocsparseL18csric0_hash_kernelILj256ELj32ELj8E21rocsparse_complex_numIfEEEviPKiS4_PT2_S4_PiS4_S7_S7_d21rocsparse_index_base_ ; -- Begin function _ZN9rocsparseL18csric0_hash_kernelILj256ELj32ELj8E21rocsparse_complex_numIfEEEviPKiS4_PT2_S4_PiS4_S7_S7_d21rocsparse_index_base_
	.p2align	8
	.type	_ZN9rocsparseL18csric0_hash_kernelILj256ELj32ELj8E21rocsparse_complex_numIfEEEviPKiS4_PT2_S4_PiS4_S7_S7_d21rocsparse_index_base_,@function
_ZN9rocsparseL18csric0_hash_kernelILj256ELj32ELj8E21rocsparse_complex_numIfEEEviPKiS4_PT2_S4_PiS4_S7_S7_d21rocsparse_index_base_: ; @_ZN9rocsparseL18csric0_hash_kernelILj256ELj32ELj8E21rocsparse_complex_numIfEEEviPKiS4_PT2_S4_PiS4_S7_S7_d21rocsparse_index_base_
; %bb.0:
	s_load_dword s0, s[4:5], 0x0
	v_lshlrev_b32_e32 v1, 3, v0
	s_lshl_b32 s1, s6, 3
	v_and_b32_e32 v5, 31, v0
	v_and_b32_e32 v6, 0x700, v1
	v_mov_b32_e32 v1, 0x2000
	v_lshrrev_b32_e32 v0, 5, v0
	s_and_b32 s1, s1, 0x7fffff8
	v_lshl_or_b32 v22, v6, 2, v1
	v_or_b32_e32 v0, s1, v0
	v_lshl_or_b32 v1, v5, 2, v22
	v_mov_b32_e32 v2, -1
	s_waitcnt lgkmcnt(0)
	v_cmp_gt_i32_e32 vcc, s0, v0
	ds_write2_b32 v1, v2, v2 offset1:32
	ds_write2_b32 v1, v2, v2 offset0:64 offset1:96
	ds_write2_b32 v1, v2, v2 offset0:128 offset1:160
	;; [unrolled: 1-line block ×3, first 2 shown]
	s_waitcnt lgkmcnt(0)
	s_and_saveexec_b64 s[0:1], vcc
	s_cbranch_execz .LBB30_52
; %bb.1:
	s_load_dwordx8 s[8:15], s[4:5], 0x28
	v_lshlrev_b32_e32 v0, 2, v0
	s_load_dwordx8 s[16:23], s[4:5], 0x8
	s_load_dword s33, s[4:5], 0x50
	s_waitcnt lgkmcnt(0)
	global_load_dword v2, v0, s[10:11]
	v_mov_b32_e32 v7, s17
	v_mov_b32_e32 v4, s23
	s_waitcnt vmcnt(0)
	v_ashrrev_i32_e32 v3, 31, v2
	v_lshlrev_b64 v[0:1], 2, v[2:3]
	v_add_co_u32_e32 v8, vcc, s16, v0
	v_addc_co_u32_e32 v9, vcc, v7, v1, vcc
	global_load_dwordx2 v[8:9], v[8:9], off
	v_add_co_u32_e32 v10, vcc, s22, v0
	v_addc_co_u32_e32 v11, vcc, v4, v1, vcc
	global_load_dword v4, v[10:11], off
	v_lshlrev_b32_e32 v3, 2, v6
	s_waitcnt vmcnt(1)
	v_subrev_u32_e32 v6, s33, v8
	v_subrev_u32_e32 v7, s33, v9
	v_add_u32_e32 v8, v6, v5
	v_cmp_lt_i32_e32 vcc, v8, v7
	s_and_saveexec_b64 s[0:1], vcc
	s_cbranch_execz .LBB30_11
; %bb.2:
	s_mov_b64 s[2:3], 0
	v_mov_b32_e32 v10, s19
	s_movk_i32 s34, 0x67
	v_mov_b32_e32 v11, -1
	s_branch .LBB30_4
.LBB30_3:                               ;   in Loop: Header=BB30_4 Depth=1
	s_or_b64 exec, exec, s[6:7]
	v_add_u32_e32 v8, 32, v8
	v_cmp_ge_i32_e32 vcc, v8, v7
	s_or_b64 s[2:3], vcc, s[2:3]
	s_andn2_b64 exec, exec, s[2:3]
	s_cbranch_execz .LBB30_11
.LBB30_4:                               ; =>This Loop Header: Depth=1
                                        ;     Child Loop BB30_7 Depth 2
	v_ashrrev_i32_e32 v9, 31, v8
	v_lshlrev_b64 v[12:13], 2, v[8:9]
	v_add_co_u32_e32 v12, vcc, s18, v12
	v_addc_co_u32_e32 v13, vcc, v10, v13, vcc
	global_load_dword v9, v[12:13], off
	s_waitcnt vmcnt(0)
	v_mul_lo_u32 v12, v9, s34
	v_and_b32_e32 v12, 0xff, v12
	v_lshl_add_u32 v13, v12, 2, v22
	ds_read_b32 v14, v13
	s_waitcnt lgkmcnt(0)
	v_cmp_ne_u32_e32 vcc, v14, v9
	s_and_saveexec_b64 s[6:7], vcc
	s_cbranch_execz .LBB30_3
; %bb.5:                                ;   in Loop: Header=BB30_4 Depth=1
	s_mov_b64 s[10:11], 0
                                        ; implicit-def: $sgpr24_sgpr25
                                        ; implicit-def: $sgpr28_sgpr29
                                        ; implicit-def: $sgpr26_sgpr27
	s_branch .LBB30_7
.LBB30_6:                               ;   in Loop: Header=BB30_7 Depth=2
	s_or_b64 exec, exec, s[30:31]
	s_and_b64 s[30:31], exec, s[28:29]
	s_or_b64 s[10:11], s[30:31], s[10:11]
	s_andn2_b64 s[24:25], s[24:25], exec
	s_and_b64 s[30:31], s[26:27], exec
	s_or_b64 s[24:25], s[24:25], s[30:31]
	s_andn2_b64 exec, exec, s[10:11]
	s_cbranch_execz .LBB30_9
.LBB30_7:                               ;   Parent Loop BB30_4 Depth=1
                                        ; =>  This Inner Loop Header: Depth=2
	ds_cmpst_rtn_b32 v13, v13, v11, v9
	v_mov_b32_e32 v14, v12
	s_or_b64 s[26:27], s[26:27], exec
	s_or_b64 s[28:29], s[28:29], exec
                                        ; implicit-def: $vgpr12
	s_waitcnt lgkmcnt(0)
	v_cmp_ne_u32_e32 vcc, -1, v13
                                        ; implicit-def: $vgpr13
	s_and_saveexec_b64 s[30:31], vcc
	s_cbranch_execz .LBB30_6
; %bb.8:                                ;   in Loop: Header=BB30_7 Depth=2
	v_add_u32_e32 v12, 1, v14
	v_and_b32_e32 v12, 0xff, v12
	v_lshl_add_u32 v13, v12, 2, v22
	ds_read_b32 v15, v13
	s_andn2_b64 s[28:29], s[28:29], exec
	s_andn2_b64 s[26:27], s[26:27], exec
	s_waitcnt lgkmcnt(0)
	v_cmp_eq_u32_e32 vcc, v15, v9
	s_and_b64 s[36:37], vcc, exec
	s_or_b64 s[28:29], s[28:29], s[36:37]
	s_branch .LBB30_6
.LBB30_9:                               ;   in Loop: Header=BB30_4 Depth=1
	s_or_b64 exec, exec, s[10:11]
	s_and_saveexec_b64 s[10:11], s[24:25]
	s_xor_b64 s[10:11], exec, s[10:11]
	s_cbranch_execz .LBB30_3
; %bb.10:                               ;   in Loop: Header=BB30_4 Depth=1
	v_lshl_add_u32 v9, v14, 2, v3
	ds_write_b32 v9, v8
	s_branch .LBB30_3
.LBB30_11:
	s_or_b64 exec, exec, s[0:1]
	v_mov_b32_e32 v9, 0
	s_waitcnt vmcnt(0)
	v_cmp_lt_i32_e32 vcc, v6, v4
	v_mov_b32_e32 v8, v9
	s_waitcnt lgkmcnt(0)
	s_and_saveexec_b64 s[6:7], vcc
	s_cbranch_execz .LBB30_33
; %bb.12:
	v_mov_b32_e32 v8, 0
	v_add_u32_e32 v23, -1, v4
	v_subrev_u32_e32 v24, s33, v5
	v_cmp_eq_u32_e64 s[0:1], 31, v5
	s_mov_b64 s[10:11], 0
	v_mov_b32_e32 v25, s19
	v_mov_b32_e32 v26, s21
	;; [unrolled: 1-line block ×5, first 2 shown]
	s_movk_i32 s17, 0x67
	v_mov_b32_e32 v9, v8
	s_branch .LBB30_15
.LBB30_13:                              ;   in Loop: Header=BB30_15 Depth=1
	s_or_b64 exec, exec, s[24:25]
	v_add_u32_e32 v6, 1, v6
	v_cmp_ge_i32_e32 vcc, v6, v4
	s_orn2_b64 s[24:25], vcc, exec
.LBB30_14:                              ;   in Loop: Header=BB30_15 Depth=1
	s_or_b64 exec, exec, s[2:3]
	s_and_b64 s[2:3], exec, s[24:25]
	s_or_b64 s[10:11], s[2:3], s[10:11]
	s_andn2_b64 exec, exec, s[10:11]
	s_cbranch_execz .LBB30_32
.LBB30_15:                              ; =>This Loop Header: Depth=1
                                        ;     Child Loop BB30_16 Depth 2
                                        ;     Child Loop BB30_22 Depth 2
                                        ;       Child Loop BB30_25 Depth 3
	v_ashrrev_i32_e32 v7, 31, v6
	v_lshlrev_b64 v[10:11], 2, v[6:7]
	v_add_co_u32_e32 v10, vcc, s18, v10
	v_addc_co_u32_e32 v11, vcc, v25, v11, vcc
	global_load_dword v14, v[10:11], off
	v_lshlrev_b64 v[10:11], 3, v[6:7]
	v_add_co_u32_e32 v10, vcc, s20, v10
	v_addc_co_u32_e32 v11, vcc, v26, v11, vcc
	global_load_dwordx2 v[12:13], v[10:11], off
	s_mov_b64 s[2:3], 0
	s_waitcnt vmcnt(1)
	v_subrev_u32_e32 v14, s33, v14
	v_ashrrev_i32_e32 v15, 31, v14
	v_lshlrev_b64 v[14:15], 2, v[14:15]
	v_add_co_u32_e32 v18, vcc, s16, v14
	v_addc_co_u32_e32 v19, vcc, v27, v15, vcc
	v_add_co_u32_e32 v20, vcc, s22, v14
	v_addc_co_u32_e32 v21, vcc, v28, v15, vcc
	global_load_dword v7, v[18:19], off
	global_load_dword v16, v[20:21], off
	v_add_co_u32_e32 v14, vcc, s8, v14
	v_addc_co_u32_e32 v15, vcc, v29, v15, vcc
.LBB30_16:                              ;   Parent Loop BB30_15 Depth=1
                                        ; =>  This Inner Loop Header: Depth=2
	global_load_dword v17, v[14:15], off glc
	s_waitcnt vmcnt(0)
	v_cmp_ne_u32_e32 vcc, 0, v17
	s_or_b64 s[2:3], vcc, s[2:3]
	s_andn2_b64 exec, exec, s[2:3]
	s_cbranch_execnz .LBB30_16
; %bb.17:                               ;   in Loop: Header=BB30_15 Depth=1
	s_or_b64 exec, exec, s[2:3]
	v_cmp_eq_u32_e32 vcc, -1, v16
	v_cndmask_b32_e32 v16, v16, v23, vcc
	v_ashrrev_i32_e32 v17, 31, v16
	v_lshlrev_b64 v[14:15], 3, v[16:17]
	v_add_co_u32_e32 v14, vcc, s20, v14
	v_addc_co_u32_e32 v15, vcc, v26, v15, vcc
	buffer_wbinvl1_vol
	global_load_dwordx2 v[14:15], v[14:15], off
	s_mov_b64 s[24:25], -1
	s_waitcnt vmcnt(0)
	v_cmp_neq_f32_e32 vcc, 0, v14
	v_cmp_neq_f32_e64 s[2:3], 0, v15
	s_or_b64 s[26:27], vcc, s[2:3]
	s_and_saveexec_b64 s[2:3], s[26:27]
	s_cbranch_execz .LBB30_14
; %bb.18:                               ;   in Loop: Header=BB30_15 Depth=1
	v_add_u32_e32 v20, v24, v7
	v_mov_b32_e32 v19, 0
	v_cmp_lt_i32_e32 vcc, v20, v16
	v_mov_b32_e32 v18, v19
	s_and_saveexec_b64 s[24:25], vcc
	s_cbranch_execz .LBB30_30
; %bb.19:                               ;   in Loop: Header=BB30_15 Depth=1
	v_mov_b32_e32 v18, 0
	s_mov_b64 s[26:27], 0
	v_mov_b32_e32 v19, v18
	s_branch .LBB30_22
.LBB30_20:                              ;   in Loop: Header=BB30_22 Depth=2
	s_or_b64 exec, exec, s[30:31]
.LBB30_21:                              ;   in Loop: Header=BB30_22 Depth=2
	s_or_b64 exec, exec, s[28:29]
	v_add_u32_e32 v20, 32, v20
	v_cmp_ge_i32_e32 vcc, v20, v16
	s_or_b64 s[26:27], vcc, s[26:27]
	s_andn2_b64 exec, exec, s[26:27]
	s_cbranch_execz .LBB30_29
.LBB30_22:                              ;   Parent Loop BB30_15 Depth=1
                                        ; =>  This Loop Header: Depth=2
                                        ;       Child Loop BB30_25 Depth 3
	v_ashrrev_i32_e32 v21, 31, v20
	v_lshlrev_b64 v[30:31], 2, v[20:21]
	v_add_co_u32_e32 v30, vcc, s18, v30
	v_addc_co_u32_e32 v31, vcc, v25, v31, vcc
	global_load_dword v7, v[30:31], off
	s_waitcnt vmcnt(0)
	v_mul_lo_u32 v17, v7, s17
	v_and_b32_e32 v31, 0xff, v17
	v_lshl_add_u32 v17, v31, 2, v22
	ds_read_b32 v30, v17
	s_waitcnt lgkmcnt(0)
	v_cmp_ne_u32_e32 vcc, -1, v30
	s_and_saveexec_b64 s[28:29], vcc
	s_cbranch_execz .LBB30_21
; %bb.23:                               ;   in Loop: Header=BB30_22 Depth=2
	s_mov_b64 s[34:35], 0
                                        ; implicit-def: $sgpr30_sgpr31
                                        ; implicit-def: $sgpr38_sgpr39
                                        ; implicit-def: $sgpr36_sgpr37
	s_branch .LBB30_25
.LBB30_24:                              ;   in Loop: Header=BB30_25 Depth=3
	s_or_b64 exec, exec, s[40:41]
	s_and_b64 s[40:41], exec, s[38:39]
	s_or_b64 s[34:35], s[40:41], s[34:35]
	s_andn2_b64 s[30:31], s[30:31], exec
	s_and_b64 s[40:41], s[36:37], exec
	s_or_b64 s[30:31], s[30:31], s[40:41]
	s_andn2_b64 exec, exec, s[34:35]
	s_cbranch_execz .LBB30_27
.LBB30_25:                              ;   Parent Loop BB30_15 Depth=1
                                        ;     Parent Loop BB30_22 Depth=2
                                        ; =>    This Inner Loop Header: Depth=3
	v_mov_b32_e32 v17, v31
	v_cmp_ne_u32_e32 vcc, v30, v7
	s_or_b64 s[36:37], s[36:37], exec
	s_or_b64 s[38:39], s[38:39], exec
                                        ; implicit-def: $vgpr31
                                        ; implicit-def: $vgpr30
	s_and_saveexec_b64 s[40:41], vcc
	s_cbranch_execz .LBB30_24
; %bb.26:                               ;   in Loop: Header=BB30_25 Depth=3
	v_add_u32_e32 v30, 1, v17
	v_and_b32_e32 v31, 0xff, v30
	v_lshl_add_u32 v30, v31, 2, v22
	ds_read_b32 v30, v30
	s_andn2_b64 s[38:39], s[38:39], exec
	s_andn2_b64 s[36:37], s[36:37], exec
	s_waitcnt lgkmcnt(0)
	v_cmp_eq_u32_e32 vcc, -1, v30
	s_and_b64 s[42:43], vcc, exec
	s_or_b64 s[38:39], s[38:39], s[42:43]
	s_branch .LBB30_24
.LBB30_27:                              ;   in Loop: Header=BB30_22 Depth=2
	s_or_b64 exec, exec, s[34:35]
	s_and_saveexec_b64 s[34:35], s[30:31]
	s_xor_b64 s[30:31], exec, s[34:35]
	s_cbranch_execz .LBB30_20
; %bb.28:                               ;   in Loop: Header=BB30_22 Depth=2
	v_lshl_add_u32 v7, v17, 2, v3
	ds_read_b32 v30, v7
	v_lshlrev_b64 v[32:33], 3, v[20:21]
	v_add_co_u32_e32 v32, vcc, s20, v32
	v_addc_co_u32_e32 v33, vcc, v26, v33, vcc
	s_waitcnt lgkmcnt(0)
	v_ashrrev_i32_e32 v31, 31, v30
	v_lshlrev_b64 v[30:31], 3, v[30:31]
	v_add_co_u32_e32 v30, vcc, s20, v30
	v_addc_co_u32_e32 v31, vcc, v26, v31, vcc
	global_load_dwordx2 v[34:35], v[30:31], off
	global_load_dwordx2 v[36:37], v[32:33], off
	s_waitcnt vmcnt(0)
	v_pk_fma_f32 v[18:19], v[36:37], v[34:35], v[18:19] op_sel:[1,0,0] op_sel_hi:[0,0,1]
	v_pk_fma_f32 v[18:19], v[36:37], v[34:35], v[18:19] op_sel:[0,1,0] neg_lo:[0,1,0]
	s_branch .LBB30_20
.LBB30_29:                              ;   in Loop: Header=BB30_15 Depth=1
	s_or_b64 exec, exec, s[26:27]
.LBB30_30:                              ;   in Loop: Header=BB30_15 Depth=1
	s_or_b64 exec, exec, s[24:25]
	v_mov_b32_e32 v16, v19
	v_mov_b32_e32 v17, v18
	v_mov_b32_dpp v20, v19 row_shr:1 row_mask:0xf bank_mask:0xf
	v_mov_b32_dpp v21, v18 row_shr:1 row_mask:0xf bank_mask:0xf
	v_pk_add_f32 v[16:17], v[16:17], v[20:21]
	s_nop 1
	v_mov_b32_dpp v18, v16 row_shr:2 row_mask:0xf bank_mask:0xf
	v_mov_b32_dpp v19, v17 row_shr:2 row_mask:0xf bank_mask:0xf
	v_pk_add_f32 v[16:17], v[16:17], v[18:19]
	s_nop 1
	;; [unrolled: 4-line block ×4, first 2 shown]
	v_mov_b32_dpp v18, v16 row_bcast:15 row_mask:0xa bank_mask:0xf
	v_mov_b32_dpp v19, v17 row_bcast:15 row_mask:0xa bank_mask:0xf
	s_and_saveexec_b64 s[24:25], s[0:1]
	s_cbranch_execz .LBB30_13
; %bb.31:                               ;   in Loop: Header=BB30_15 Depth=1
	v_mul_f32_e32 v7, v15, v15
	v_fmac_f32_e32 v7, v14, v14
	v_div_scale_f32 v20, s[26:27], v7, v7, 1.0
	v_rcp_f32_e32 v21, v20
	v_div_scale_f32 v30, vcc, 1.0, v7, 1.0
	v_pk_add_f32 v[16:17], v[16:17], v[18:19]
	v_fma_f32 v31, -v20, v21, 1.0
	v_fmac_f32_e32 v21, v31, v21
	v_mul_f32_e32 v31, v30, v21
	v_fma_f32 v32, -v20, v31, v30
	v_fmac_f32_e32 v31, v32, v21
	v_fma_f32 v20, -v20, v31, v30
	v_div_fmas_f32 v20, v20, v21, v31
	v_div_fixup_f32 v7, v20, v7, 1.0
	v_fma_f32 v20, 0, v15, v14
	v_fma_f32 v14, v14, 0, -v15
	v_mul_f32_e32 v14, v14, v7
	v_pk_add_f32 v[12:13], v[12:13], v[16:17] neg_lo:[0,1] neg_hi:[0,1]
	v_mul_f32_e32 v20, v20, v7
	v_pk_mul_f32 v[14:15], v[14:15], v[12:13] op_sel:[0,1] op_sel_hi:[0,0] neg_lo:[0,1]
	v_pk_fma_f32 v[12:13], v[12:13], v[20:21], v[14:15] op_sel_hi:[1,0,1]
	v_xor_b32_e32 v14, 0x80000000, v13
	v_pk_fma_f32 v[8:9], v[12:13], v[12:13], v[8:9] op_sel:[1,0,0] op_sel_hi:[0,0,1]
	v_mov_b32_e32 v15, v13
	v_pk_fma_f32 v[8:9], v[12:13], v[14:15], v[8:9]
	global_store_dwordx2 v[10:11], v[12:13], off
	s_branch .LBB30_13
.LBB30_32:
	s_or_b64 exec, exec, s[10:11]
.LBB30_33:
	s_or_b64 exec, exec, s[6:7]
	v_cmp_eq_u32_e64 s[0:1], 31, v5
	v_cmp_lt_i32_e32 vcc, -1, v4
	s_and_b64 s[2:3], s[0:1], vcc
	s_and_saveexec_b64 s[6:7], s[2:3]
	s_cbranch_execz .LBB30_50
; %bb.34:
	v_mov_b32_e32 v5, 0
	v_lshlrev_b64 v[4:5], 3, v[4:5]
	v_mov_b32_e32 v3, s21
	v_add_co_u32_e32 v4, vcc, s20, v4
	v_addc_co_u32_e32 v5, vcc, v3, v5, vcc
	global_load_dwordx2 v[6:7], v[4:5], off
	s_load_dwordx2 s[2:3], s[4:5], 0x48
	v_add_u32_e32 v2, s33, v2
	s_waitcnt lgkmcnt(0)
	v_mul_f64 v[10:11], s[2:3], s[2:3]
	s_waitcnt vmcnt(0)
	v_pk_add_f32 v[6:7], v[6:7], v[8:9] op_sel:[1,0] op_sel_hi:[0,1] neg_lo:[0,1] neg_hi:[0,1]
	v_cvt_f64_f32_e32 v[8:9], v7
	v_cmp_eq_f32_e32 vcc, 0, v6
	v_cmp_ge_f64_e64 s[2:3], v[10:11], v[8:9]
	s_and_b64 s[4:5], s[2:3], vcc
	s_and_saveexec_b64 s[2:3], s[4:5]
	s_cbranch_execz .LBB30_39
; %bb.35:
	s_mov_b64 s[4:5], exec
	s_brev_b32 s10, -2
.LBB30_36:                              ; =>This Inner Loop Header: Depth=1
	s_ff1_i32_b64 s11, s[4:5]
	v_readlane_b32 s18, v2, s11
	s_lshl_b64 s[16:17], 1, s11
	s_min_i32 s10, s10, s18
	s_andn2_b64 s[4:5], s[4:5], s[16:17]
	s_cmp_lg_u64 s[4:5], 0
	s_cbranch_scc1 .LBB30_36
; %bb.37:
	v_mbcnt_lo_u32_b32 v3, exec_lo, 0
	v_mbcnt_hi_u32_b32 v3, exec_hi, v3
	v_cmp_eq_u32_e32 vcc, 0, v3
	s_and_saveexec_b64 s[4:5], vcc
	s_xor_b64 s[4:5], exec, s[4:5]
	s_cbranch_execz .LBB30_39
; %bb.38:
	v_mov_b32_e32 v3, 0
	v_mov_b32_e32 v8, s10
	global_atomic_smin v3, v8, s[14:15]
.LBB30_39:
	s_or_b64 exec, exec, s[2:3]
	v_cmp_gt_f32_e32 vcc, 0, v6
	v_cndmask_b32_e64 v3, v6, -v6, vcc
	v_cmp_gt_f32_e32 vcc, 0, v7
	v_cndmask_b32_e64 v7, v7, -v7, vcc
	v_cmp_ngt_f32_e32 vcc, v7, v3
                                        ; implicit-def: $vgpr8
	s_and_saveexec_b64 s[2:3], vcc
	s_xor_b64 s[4:5], exec, s[2:3]
	s_cbranch_execz .LBB30_43
; %bb.40:
	v_cmp_neq_f32_e32 vcc, 0, v6
	v_mov_b32_e32 v8, 0
	s_and_saveexec_b64 s[10:11], vcc
	s_cbranch_execz .LBB30_42
; %bb.41:
	v_div_scale_f32 v6, s[2:3], v3, v3, v7
	v_rcp_f32_e32 v8, v6
	v_div_scale_f32 v9, vcc, v7, v3, v7
	s_mov_b32 s2, 0xf800000
	v_fma_f32 v10, -v6, v8, 1.0
	v_fmac_f32_e32 v8, v10, v8
	v_mul_f32_e32 v10, v9, v8
	v_fma_f32 v11, -v6, v10, v9
	v_fmac_f32_e32 v10, v11, v8
	v_fma_f32 v6, -v6, v10, v9
	v_div_fmas_f32 v6, v6, v8, v10
	v_div_fixup_f32 v6, v6, v3, v7
	v_fma_f32 v6, v6, v6, 1.0
	v_mul_f32_e32 v7, 0x4f800000, v6
	v_cmp_gt_f32_e32 vcc, s2, v6
	v_cndmask_b32_e32 v6, v6, v7, vcc
	v_sqrt_f32_e32 v7, v6
	v_add_u32_e32 v8, -1, v7
	v_fma_f32 v9, -v8, v7, v6
	v_cmp_ge_f32_e64 s[2:3], 0, v9
	v_add_u32_e32 v9, 1, v7
	v_cndmask_b32_e64 v8, v7, v8, s[2:3]
	v_fma_f32 v7, -v9, v7, v6
	v_cmp_lt_f32_e64 s[2:3], 0, v7
	v_cndmask_b32_e64 v7, v8, v9, s[2:3]
	v_mul_f32_e32 v8, 0x37800000, v7
	v_cndmask_b32_e32 v7, v7, v8, vcc
	v_mov_b32_e32 v8, 0x260
	v_cmp_class_f32_e32 vcc, v6, v8
	v_cndmask_b32_e32 v6, v7, v6, vcc
	v_mul_f32_e32 v8, v3, v6
.LBB30_42:
	s_or_b64 exec, exec, s[10:11]
                                        ; implicit-def: $vgpr7
                                        ; implicit-def: $vgpr3
.LBB30_43:
	s_andn2_saveexec_b64 s[4:5], s[4:5]
	s_cbranch_execz .LBB30_45
; %bb.44:
	v_div_scale_f32 v6, s[2:3], v7, v7, v3
	v_rcp_f32_e32 v8, v6
	v_div_scale_f32 v9, vcc, v3, v7, v3
	s_mov_b32 s2, 0xf800000
	v_fma_f32 v10, -v6, v8, 1.0
	v_fmac_f32_e32 v8, v10, v8
	v_mul_f32_e32 v10, v9, v8
	v_fma_f32 v11, -v6, v10, v9
	v_fmac_f32_e32 v10, v11, v8
	v_fma_f32 v6, -v6, v10, v9
	v_div_fmas_f32 v6, v6, v8, v10
	v_div_fixup_f32 v3, v6, v7, v3
	v_fma_f32 v3, v3, v3, 1.0
	v_mul_f32_e32 v6, 0x4f800000, v3
	v_cmp_gt_f32_e32 vcc, s2, v3
	v_cndmask_b32_e32 v3, v3, v6, vcc
	v_sqrt_f32_e32 v6, v3
	v_add_u32_e32 v8, -1, v6
	v_fma_f32 v9, -v8, v6, v3
	v_cmp_ge_f32_e64 s[2:3], 0, v9
	v_add_u32_e32 v9, 1, v6
	v_cndmask_b32_e64 v8, v6, v8, s[2:3]
	v_fma_f32 v6, -v9, v6, v3
	v_cmp_lt_f32_e64 s[2:3], 0, v6
	v_cndmask_b32_e64 v6, v8, v9, s[2:3]
	v_mul_f32_e32 v8, 0x37800000, v6
	v_cndmask_b32_e32 v6, v6, v8, vcc
	v_mov_b32_e32 v8, 0x260
	v_cmp_class_f32_e32 vcc, v3, v8
	v_cndmask_b32_e32 v3, v6, v3, vcc
	v_mul_f32_e32 v8, v7, v3
.LBB30_45:
	s_or_b64 exec, exec, s[4:5]
	s_mov_b32 s2, 0xf800000
	v_mul_f32_e32 v3, 0x4f800000, v8
	v_cmp_gt_f32_e32 vcc, s2, v8
	v_cndmask_b32_e32 v3, v8, v3, vcc
	v_sqrt_f32_e32 v6, v3
	v_add_u32_e32 v7, -1, v6
	v_fma_f32 v8, -v7, v6, v3
	v_cmp_ge_f32_e64 s[2:3], 0, v8
	v_add_u32_e32 v8, 1, v6
	v_cndmask_b32_e64 v7, v6, v7, s[2:3]
	v_fma_f32 v6, -v8, v6, v3
	v_cmp_lt_f32_e64 s[2:3], 0, v6
	v_cndmask_b32_e64 v6, v7, v8, s[2:3]
	v_mul_f32_e32 v7, 0x37800000, v6
	v_cndmask_b32_e32 v6, v6, v7, vcc
	v_mov_b32_e32 v7, 0x260
	v_cmp_class_f32_e32 vcc, v3, v7
	v_cndmask_b32_e32 v6, v6, v3, vcc
	v_mov_b32_e32 v7, 0
	v_cmp_eq_f32_e32 vcc, 0, v6
	global_store_dwordx2 v[4:5], v[6:7], off
	s_and_b64 exec, exec, vcc
	s_cbranch_execz .LBB30_50
; %bb.46:
	s_mov_b64 s[2:3], exec
	s_brev_b32 s4, -2
.LBB30_47:                              ; =>This Inner Loop Header: Depth=1
	s_ff1_i32_b64 s5, s[2:3]
	v_readlane_b32 s14, v2, s5
	s_lshl_b64 s[10:11], 1, s5
	s_min_i32 s4, s4, s14
	s_andn2_b64 s[2:3], s[2:3], s[10:11]
	s_cmp_lg_u64 s[2:3], 0
	s_cbranch_scc1 .LBB30_47
; %bb.48:
	v_mbcnt_lo_u32_b32 v2, exec_lo, 0
	v_mbcnt_hi_u32_b32 v2, exec_hi, v2
	v_cmp_eq_u32_e32 vcc, 0, v2
	s_and_saveexec_b64 s[2:3], vcc
	s_xor_b64 s[2:3], exec, s[2:3]
	s_cbranch_execz .LBB30_50
; %bb.49:
	v_mov_b32_e32 v2, 0
	v_mov_b32_e32 v3, s4
	global_atomic_smin v2, v3, s[12:13]
.LBB30_50:
	s_or_b64 exec, exec, s[6:7]
	s_and_b64 exec, exec, s[0:1]
	s_cbranch_execz .LBB30_52
; %bb.51:
	v_mov_b32_e32 v2, s9
	v_add_co_u32_e32 v0, vcc, s8, v0
	v_addc_co_u32_e32 v1, vcc, v2, v1, vcc
	v_mov_b32_e32 v2, 1
	s_waitcnt vmcnt(0)
	global_store_dword v[0:1], v2, off
.LBB30_52:
	s_endpgm
	.section	.rodata,"a",@progbits
	.p2align	6, 0x0
	.amdhsa_kernel _ZN9rocsparseL18csric0_hash_kernelILj256ELj32ELj8E21rocsparse_complex_numIfEEEviPKiS4_PT2_S4_PiS4_S7_S7_d21rocsparse_index_base_
		.amdhsa_group_segment_fixed_size 16384
		.amdhsa_private_segment_fixed_size 0
		.amdhsa_kernarg_size 84
		.amdhsa_user_sgpr_count 6
		.amdhsa_user_sgpr_private_segment_buffer 1
		.amdhsa_user_sgpr_dispatch_ptr 0
		.amdhsa_user_sgpr_queue_ptr 0
		.amdhsa_user_sgpr_kernarg_segment_ptr 1
		.amdhsa_user_sgpr_dispatch_id 0
		.amdhsa_user_sgpr_flat_scratch_init 0
		.amdhsa_user_sgpr_kernarg_preload_length 0
		.amdhsa_user_sgpr_kernarg_preload_offset 0
		.amdhsa_user_sgpr_private_segment_size 0
		.amdhsa_uses_dynamic_stack 0
		.amdhsa_system_sgpr_private_segment_wavefront_offset 0
		.amdhsa_system_sgpr_workgroup_id_x 1
		.amdhsa_system_sgpr_workgroup_id_y 0
		.amdhsa_system_sgpr_workgroup_id_z 0
		.amdhsa_system_sgpr_workgroup_info 0
		.amdhsa_system_vgpr_workitem_id 0
		.amdhsa_next_free_vgpr 38
		.amdhsa_next_free_sgpr 44
		.amdhsa_accum_offset 40
		.amdhsa_reserve_vcc 1
		.amdhsa_reserve_flat_scratch 0
		.amdhsa_float_round_mode_32 0
		.amdhsa_float_round_mode_16_64 0
		.amdhsa_float_denorm_mode_32 3
		.amdhsa_float_denorm_mode_16_64 3
		.amdhsa_dx10_clamp 1
		.amdhsa_ieee_mode 1
		.amdhsa_fp16_overflow 0
		.amdhsa_tg_split 0
		.amdhsa_exception_fp_ieee_invalid_op 0
		.amdhsa_exception_fp_denorm_src 0
		.amdhsa_exception_fp_ieee_div_zero 0
		.amdhsa_exception_fp_ieee_overflow 0
		.amdhsa_exception_fp_ieee_underflow 0
		.amdhsa_exception_fp_ieee_inexact 0
		.amdhsa_exception_int_div_zero 0
	.end_amdhsa_kernel
	.section	.text._ZN9rocsparseL18csric0_hash_kernelILj256ELj32ELj8E21rocsparse_complex_numIfEEEviPKiS4_PT2_S4_PiS4_S7_S7_d21rocsparse_index_base_,"axG",@progbits,_ZN9rocsparseL18csric0_hash_kernelILj256ELj32ELj8E21rocsparse_complex_numIfEEEviPKiS4_PT2_S4_PiS4_S7_S7_d21rocsparse_index_base_,comdat
.Lfunc_end30:
	.size	_ZN9rocsparseL18csric0_hash_kernelILj256ELj32ELj8E21rocsparse_complex_numIfEEEviPKiS4_PT2_S4_PiS4_S7_S7_d21rocsparse_index_base_, .Lfunc_end30-_ZN9rocsparseL18csric0_hash_kernelILj256ELj32ELj8E21rocsparse_complex_numIfEEEviPKiS4_PT2_S4_PiS4_S7_S7_d21rocsparse_index_base_
                                        ; -- End function
	.section	.AMDGPU.csdata,"",@progbits
; Kernel info:
; codeLenInByte = 2552
; NumSgprs: 48
; NumVgprs: 38
; NumAgprs: 0
; TotalNumVgprs: 38
; ScratchSize: 0
; MemoryBound: 0
; FloatMode: 240
; IeeeMode: 1
; LDSByteSize: 16384 bytes/workgroup (compile time only)
; SGPRBlocks: 5
; VGPRBlocks: 4
; NumSGPRsForWavesPerEU: 48
; NumVGPRsForWavesPerEU: 38
; AccumOffset: 40
; Occupancy: 4
; WaveLimiterHint : 1
; COMPUTE_PGM_RSRC2:SCRATCH_EN: 0
; COMPUTE_PGM_RSRC2:USER_SGPR: 6
; COMPUTE_PGM_RSRC2:TRAP_HANDLER: 0
; COMPUTE_PGM_RSRC2:TGID_X_EN: 1
; COMPUTE_PGM_RSRC2:TGID_Y_EN: 0
; COMPUTE_PGM_RSRC2:TGID_Z_EN: 0
; COMPUTE_PGM_RSRC2:TIDIG_COMP_CNT: 0
; COMPUTE_PGM_RSRC3_GFX90A:ACCUM_OFFSET: 9
; COMPUTE_PGM_RSRC3_GFX90A:TG_SPLIT: 0
	.section	.text._ZN9rocsparseL18csric0_hash_kernelILj256ELj32ELj16E21rocsparse_complex_numIfEEEviPKiS4_PT2_S4_PiS4_S7_S7_d21rocsparse_index_base_,"axG",@progbits,_ZN9rocsparseL18csric0_hash_kernelILj256ELj32ELj16E21rocsparse_complex_numIfEEEviPKiS4_PT2_S4_PiS4_S7_S7_d21rocsparse_index_base_,comdat
	.globl	_ZN9rocsparseL18csric0_hash_kernelILj256ELj32ELj16E21rocsparse_complex_numIfEEEviPKiS4_PT2_S4_PiS4_S7_S7_d21rocsparse_index_base_ ; -- Begin function _ZN9rocsparseL18csric0_hash_kernelILj256ELj32ELj16E21rocsparse_complex_numIfEEEviPKiS4_PT2_S4_PiS4_S7_S7_d21rocsparse_index_base_
	.p2align	8
	.type	_ZN9rocsparseL18csric0_hash_kernelILj256ELj32ELj16E21rocsparse_complex_numIfEEEviPKiS4_PT2_S4_PiS4_S7_S7_d21rocsparse_index_base_,@function
_ZN9rocsparseL18csric0_hash_kernelILj256ELj32ELj16E21rocsparse_complex_numIfEEEviPKiS4_PT2_S4_PiS4_S7_S7_d21rocsparse_index_base_: ; @_ZN9rocsparseL18csric0_hash_kernelILj256ELj32ELj16E21rocsparse_complex_numIfEEEviPKiS4_PT2_S4_PiS4_S7_S7_d21rocsparse_index_base_
; %bb.0:
	s_load_dwordx8 s[16:23], s[4:5], 0x8
	s_load_dwordx8 s[8:15], s[4:5], 0x28
	v_and_b32_e32 v7, 31, v0
	v_lshrrev_b32_e32 v1, 5, v0
	v_lshlrev_b32_e32 v3, 11, v1
	v_lshlrev_b32_e32 v4, 2, v7
	s_movk_i32 s0, 0x4000
	v_or_b32_e32 v2, 0xffffffe0, v7
	v_or3_b32 v3, v3, v4, s0
	s_mov_b64 s[0:1], 0
	v_mov_b32_e32 v4, -1
	s_movk_i32 s2, 0x1df
.LBB31_1:                               ; =>This Inner Loop Header: Depth=1
	v_add_u32_e32 v2, 32, v2
	v_cmp_lt_u32_e32 vcc, s2, v2
	ds_write_b32 v3, v4
	s_or_b64 s[0:1], vcc, s[0:1]
	v_add_u32_e32 v3, 0x80, v3
	s_andn2_b64 exec, exec, s[0:1]
	s_cbranch_execnz .LBB31_1
; %bb.2:
	s_or_b64 exec, exec, s[0:1]
	s_load_dword s0, s[4:5], 0x0
	s_lshl_b32 s1, s6, 3
	s_and_b32 s1, s1, 0x7fffff8
	v_or_b32_e32 v1, s1, v1
	s_waitcnt lgkmcnt(0)
	v_cmp_gt_i32_e32 vcc, s0, v1
	s_and_saveexec_b64 s[0:1], vcc
	s_cbranch_execz .LBB31_54
; %bb.3:
	v_lshlrev_b32_e32 v1, 2, v1
	global_load_dword v4, v1, s[10:11]
	v_mov_b32_e32 v6, s17
	v_mov_b32_e32 v1, s23
	s_load_dword s33, s[4:5], 0x50
	v_lshlrev_b32_e32 v0, 6, v0
	s_waitcnt vmcnt(0)
	v_ashrrev_i32_e32 v5, 31, v4
	v_lshlrev_b64 v[2:3], 2, v[4:5]
	v_add_co_u32_e32 v8, vcc, s16, v2
	v_addc_co_u32_e32 v9, vcc, v6, v3, vcc
	global_load_dwordx2 v[8:9], v[8:9], off
	v_add_co_u32_e32 v10, vcc, s22, v2
	v_addc_co_u32_e32 v11, vcc, v1, v3, vcc
	global_load_dword v6, v[10:11], off
	v_and_b32_e32 v5, 0x3800, v0
	v_or_b32_e32 v22, 0x4000, v5
	s_waitcnt vmcnt(1) lgkmcnt(0)
	v_subrev_u32_e32 v0, s33, v8
	v_subrev_u32_e32 v1, s33, v9
	v_add_u32_e32 v8, v0, v7
	v_cmp_lt_i32_e32 vcc, v8, v1
	s_and_saveexec_b64 s[0:1], vcc
	s_cbranch_execz .LBB31_13
; %bb.4:
	s_mov_b64 s[2:3], 0
	v_mov_b32_e32 v10, s19
	s_movk_i32 s34, 0x67
	v_mov_b32_e32 v11, -1
	s_branch .LBB31_6
.LBB31_5:                               ;   in Loop: Header=BB31_6 Depth=1
	s_or_b64 exec, exec, s[6:7]
	v_add_u32_e32 v8, 32, v8
	v_cmp_ge_i32_e32 vcc, v8, v1
	s_or_b64 s[2:3], vcc, s[2:3]
	s_andn2_b64 exec, exec, s[2:3]
	s_cbranch_execz .LBB31_13
.LBB31_6:                               ; =>This Loop Header: Depth=1
                                        ;     Child Loop BB31_9 Depth 2
	v_ashrrev_i32_e32 v9, 31, v8
	v_lshlrev_b64 v[12:13], 2, v[8:9]
	v_add_co_u32_e32 v12, vcc, s18, v12
	v_addc_co_u32_e32 v13, vcc, v10, v13, vcc
	global_load_dword v9, v[12:13], off
	s_waitcnt vmcnt(0)
	v_mul_lo_u32 v12, v9, s34
	v_and_b32_e32 v12, 0x1ff, v12
	v_lshl_add_u32 v13, v12, 2, v22
	ds_read_b32 v14, v13
	s_waitcnt lgkmcnt(0)
	v_cmp_ne_u32_e32 vcc, v14, v9
	s_and_saveexec_b64 s[6:7], vcc
	s_cbranch_execz .LBB31_5
; %bb.7:                                ;   in Loop: Header=BB31_6 Depth=1
	s_mov_b64 s[10:11], 0
                                        ; implicit-def: $sgpr24_sgpr25
                                        ; implicit-def: $sgpr28_sgpr29
                                        ; implicit-def: $sgpr26_sgpr27
	s_branch .LBB31_9
.LBB31_8:                               ;   in Loop: Header=BB31_9 Depth=2
	s_or_b64 exec, exec, s[30:31]
	s_and_b64 s[30:31], exec, s[28:29]
	s_or_b64 s[10:11], s[30:31], s[10:11]
	s_andn2_b64 s[24:25], s[24:25], exec
	s_and_b64 s[30:31], s[26:27], exec
	s_or_b64 s[24:25], s[24:25], s[30:31]
	s_andn2_b64 exec, exec, s[10:11]
	s_cbranch_execz .LBB31_11
.LBB31_9:                               ;   Parent Loop BB31_6 Depth=1
                                        ; =>  This Inner Loop Header: Depth=2
	ds_cmpst_rtn_b32 v13, v13, v11, v9
	v_mov_b32_e32 v14, v12
	s_or_b64 s[26:27], s[26:27], exec
	s_or_b64 s[28:29], s[28:29], exec
                                        ; implicit-def: $vgpr12
	s_waitcnt lgkmcnt(0)
	v_cmp_ne_u32_e32 vcc, -1, v13
                                        ; implicit-def: $vgpr13
	s_and_saveexec_b64 s[30:31], vcc
	s_cbranch_execz .LBB31_8
; %bb.10:                               ;   in Loop: Header=BB31_9 Depth=2
	v_add_u32_e32 v12, 1, v14
	v_and_b32_e32 v12, 0x1ff, v12
	v_lshl_add_u32 v13, v12, 2, v22
	ds_read_b32 v15, v13
	s_andn2_b64 s[28:29], s[28:29], exec
	s_andn2_b64 s[26:27], s[26:27], exec
	s_waitcnt lgkmcnt(0)
	v_cmp_eq_u32_e32 vcc, v15, v9
	s_and_b64 s[36:37], vcc, exec
	s_or_b64 s[28:29], s[28:29], s[36:37]
	s_branch .LBB31_8
.LBB31_11:                              ;   in Loop: Header=BB31_6 Depth=1
	s_or_b64 exec, exec, s[10:11]
	s_and_saveexec_b64 s[10:11], s[24:25]
	s_xor_b64 s[10:11], exec, s[10:11]
	s_cbranch_execz .LBB31_5
; %bb.12:                               ;   in Loop: Header=BB31_6 Depth=1
	v_lshl_add_u32 v9, v14, 2, v5
	ds_write_b32 v9, v8
	s_branch .LBB31_5
.LBB31_13:
	s_or_b64 exec, exec, s[0:1]
	v_mov_b32_e32 v9, 0
	s_waitcnt vmcnt(0)
	v_cmp_lt_i32_e32 vcc, v0, v6
	v_mov_b32_e32 v8, v9
	s_waitcnt lgkmcnt(0)
	s_and_saveexec_b64 s[6:7], vcc
	s_cbranch_execz .LBB31_35
; %bb.14:
	v_mov_b32_e32 v8, 0
	v_add_u32_e32 v23, -1, v6
	v_subrev_u32_e32 v24, s33, v7
	v_cmp_eq_u32_e64 s[0:1], 31, v7
	s_mov_b64 s[10:11], 0
	v_mov_b32_e32 v25, s19
	v_mov_b32_e32 v26, s21
	;; [unrolled: 1-line block ×5, first 2 shown]
	s_movk_i32 s17, 0x67
	v_mov_b32_e32 v9, v8
	s_branch .LBB31_17
.LBB31_15:                              ;   in Loop: Header=BB31_17 Depth=1
	s_or_b64 exec, exec, s[24:25]
	v_add_u32_e32 v0, 1, v0
	v_cmp_ge_i32_e32 vcc, v0, v6
	s_orn2_b64 s[24:25], vcc, exec
.LBB31_16:                              ;   in Loop: Header=BB31_17 Depth=1
	s_or_b64 exec, exec, s[2:3]
	s_and_b64 s[2:3], exec, s[24:25]
	s_or_b64 s[10:11], s[2:3], s[10:11]
	s_andn2_b64 exec, exec, s[10:11]
	s_cbranch_execz .LBB31_34
.LBB31_17:                              ; =>This Loop Header: Depth=1
                                        ;     Child Loop BB31_18 Depth 2
                                        ;     Child Loop BB31_24 Depth 2
                                        ;       Child Loop BB31_27 Depth 3
	v_ashrrev_i32_e32 v1, 31, v0
	v_lshlrev_b64 v[10:11], 2, v[0:1]
	v_add_co_u32_e32 v10, vcc, s18, v10
	v_addc_co_u32_e32 v11, vcc, v25, v11, vcc
	global_load_dword v14, v[10:11], off
	v_lshlrev_b64 v[10:11], 3, v[0:1]
	v_add_co_u32_e32 v10, vcc, s20, v10
	v_addc_co_u32_e32 v11, vcc, v26, v11, vcc
	global_load_dwordx2 v[12:13], v[10:11], off
	s_mov_b64 s[2:3], 0
	s_waitcnt vmcnt(1)
	v_subrev_u32_e32 v14, s33, v14
	v_ashrrev_i32_e32 v15, 31, v14
	v_lshlrev_b64 v[14:15], 2, v[14:15]
	v_add_co_u32_e32 v18, vcc, s16, v14
	v_addc_co_u32_e32 v19, vcc, v27, v15, vcc
	v_add_co_u32_e32 v20, vcc, s22, v14
	v_addc_co_u32_e32 v21, vcc, v28, v15, vcc
	global_load_dword v1, v[18:19], off
	global_load_dword v16, v[20:21], off
	v_add_co_u32_e32 v14, vcc, s8, v14
	v_addc_co_u32_e32 v15, vcc, v29, v15, vcc
.LBB31_18:                              ;   Parent Loop BB31_17 Depth=1
                                        ; =>  This Inner Loop Header: Depth=2
	global_load_dword v17, v[14:15], off glc
	s_waitcnt vmcnt(0)
	v_cmp_ne_u32_e32 vcc, 0, v17
	s_or_b64 s[2:3], vcc, s[2:3]
	s_andn2_b64 exec, exec, s[2:3]
	s_cbranch_execnz .LBB31_18
; %bb.19:                               ;   in Loop: Header=BB31_17 Depth=1
	s_or_b64 exec, exec, s[2:3]
	v_cmp_eq_u32_e32 vcc, -1, v16
	v_cndmask_b32_e32 v16, v16, v23, vcc
	v_ashrrev_i32_e32 v17, 31, v16
	v_lshlrev_b64 v[14:15], 3, v[16:17]
	v_add_co_u32_e32 v14, vcc, s20, v14
	v_addc_co_u32_e32 v15, vcc, v26, v15, vcc
	buffer_wbinvl1_vol
	global_load_dwordx2 v[14:15], v[14:15], off
	s_mov_b64 s[24:25], -1
	s_waitcnt vmcnt(0)
	v_cmp_neq_f32_e32 vcc, 0, v14
	v_cmp_neq_f32_e64 s[2:3], 0, v15
	s_or_b64 s[26:27], vcc, s[2:3]
	s_and_saveexec_b64 s[2:3], s[26:27]
	s_cbranch_execz .LBB31_16
; %bb.20:                               ;   in Loop: Header=BB31_17 Depth=1
	v_add_u32_e32 v20, v24, v1
	v_mov_b32_e32 v19, 0
	v_cmp_lt_i32_e32 vcc, v20, v16
	v_mov_b32_e32 v18, v19
	s_and_saveexec_b64 s[24:25], vcc
	s_cbranch_execz .LBB31_32
; %bb.21:                               ;   in Loop: Header=BB31_17 Depth=1
	v_mov_b32_e32 v18, 0
	s_mov_b64 s[26:27], 0
	v_mov_b32_e32 v19, v18
	s_branch .LBB31_24
.LBB31_22:                              ;   in Loop: Header=BB31_24 Depth=2
	s_or_b64 exec, exec, s[30:31]
.LBB31_23:                              ;   in Loop: Header=BB31_24 Depth=2
	s_or_b64 exec, exec, s[28:29]
	v_add_u32_e32 v20, 32, v20
	v_cmp_ge_i32_e32 vcc, v20, v16
	s_or_b64 s[26:27], vcc, s[26:27]
	s_andn2_b64 exec, exec, s[26:27]
	s_cbranch_execz .LBB31_31
.LBB31_24:                              ;   Parent Loop BB31_17 Depth=1
                                        ; =>  This Loop Header: Depth=2
                                        ;       Child Loop BB31_27 Depth 3
	v_ashrrev_i32_e32 v21, 31, v20
	v_lshlrev_b64 v[30:31], 2, v[20:21]
	v_add_co_u32_e32 v30, vcc, s18, v30
	v_addc_co_u32_e32 v31, vcc, v25, v31, vcc
	global_load_dword v1, v[30:31], off
	s_waitcnt vmcnt(0)
	v_mul_lo_u32 v17, v1, s17
	v_and_b32_e32 v31, 0x1ff, v17
	v_lshl_add_u32 v17, v31, 2, v22
	ds_read_b32 v30, v17
	s_waitcnt lgkmcnt(0)
	v_cmp_ne_u32_e32 vcc, -1, v30
	s_and_saveexec_b64 s[28:29], vcc
	s_cbranch_execz .LBB31_23
; %bb.25:                               ;   in Loop: Header=BB31_24 Depth=2
	s_mov_b64 s[34:35], 0
                                        ; implicit-def: $sgpr30_sgpr31
                                        ; implicit-def: $sgpr38_sgpr39
                                        ; implicit-def: $sgpr36_sgpr37
	s_branch .LBB31_27
.LBB31_26:                              ;   in Loop: Header=BB31_27 Depth=3
	s_or_b64 exec, exec, s[40:41]
	s_and_b64 s[40:41], exec, s[38:39]
	s_or_b64 s[34:35], s[40:41], s[34:35]
	s_andn2_b64 s[30:31], s[30:31], exec
	s_and_b64 s[40:41], s[36:37], exec
	s_or_b64 s[30:31], s[30:31], s[40:41]
	s_andn2_b64 exec, exec, s[34:35]
	s_cbranch_execz .LBB31_29
.LBB31_27:                              ;   Parent Loop BB31_17 Depth=1
                                        ;     Parent Loop BB31_24 Depth=2
                                        ; =>    This Inner Loop Header: Depth=3
	v_mov_b32_e32 v17, v31
	v_cmp_ne_u32_e32 vcc, v30, v1
	s_or_b64 s[36:37], s[36:37], exec
	s_or_b64 s[38:39], s[38:39], exec
                                        ; implicit-def: $vgpr31
                                        ; implicit-def: $vgpr30
	s_and_saveexec_b64 s[40:41], vcc
	s_cbranch_execz .LBB31_26
; %bb.28:                               ;   in Loop: Header=BB31_27 Depth=3
	v_add_u32_e32 v30, 1, v17
	v_and_b32_e32 v31, 0x1ff, v30
	v_lshl_add_u32 v30, v31, 2, v22
	ds_read_b32 v30, v30
	s_andn2_b64 s[38:39], s[38:39], exec
	s_andn2_b64 s[36:37], s[36:37], exec
	s_waitcnt lgkmcnt(0)
	v_cmp_eq_u32_e32 vcc, -1, v30
	s_and_b64 s[42:43], vcc, exec
	s_or_b64 s[38:39], s[38:39], s[42:43]
	s_branch .LBB31_26
.LBB31_29:                              ;   in Loop: Header=BB31_24 Depth=2
	s_or_b64 exec, exec, s[34:35]
	s_and_saveexec_b64 s[34:35], s[30:31]
	s_xor_b64 s[30:31], exec, s[34:35]
	s_cbranch_execz .LBB31_22
; %bb.30:                               ;   in Loop: Header=BB31_24 Depth=2
	v_lshl_add_u32 v1, v17, 2, v5
	ds_read_b32 v30, v1
	v_lshlrev_b64 v[32:33], 3, v[20:21]
	v_add_co_u32_e32 v32, vcc, s20, v32
	v_addc_co_u32_e32 v33, vcc, v26, v33, vcc
	s_waitcnt lgkmcnt(0)
	v_ashrrev_i32_e32 v31, 31, v30
	v_lshlrev_b64 v[30:31], 3, v[30:31]
	v_add_co_u32_e32 v30, vcc, s20, v30
	v_addc_co_u32_e32 v31, vcc, v26, v31, vcc
	global_load_dwordx2 v[34:35], v[30:31], off
	global_load_dwordx2 v[36:37], v[32:33], off
	s_waitcnt vmcnt(0)
	v_pk_fma_f32 v[18:19], v[36:37], v[34:35], v[18:19] op_sel:[1,0,0] op_sel_hi:[0,0,1]
	v_pk_fma_f32 v[18:19], v[36:37], v[34:35], v[18:19] op_sel:[0,1,0] neg_lo:[0,1,0]
	s_branch .LBB31_22
.LBB31_31:                              ;   in Loop: Header=BB31_17 Depth=1
	s_or_b64 exec, exec, s[26:27]
.LBB31_32:                              ;   in Loop: Header=BB31_17 Depth=1
	s_or_b64 exec, exec, s[24:25]
	v_mov_b32_e32 v16, v19
	v_mov_b32_e32 v17, v18
	v_mov_b32_dpp v20, v19 row_shr:1 row_mask:0xf bank_mask:0xf
	v_mov_b32_dpp v21, v18 row_shr:1 row_mask:0xf bank_mask:0xf
	v_pk_add_f32 v[16:17], v[16:17], v[20:21]
	s_nop 1
	v_mov_b32_dpp v18, v16 row_shr:2 row_mask:0xf bank_mask:0xf
	v_mov_b32_dpp v19, v17 row_shr:2 row_mask:0xf bank_mask:0xf
	v_pk_add_f32 v[16:17], v[16:17], v[18:19]
	s_nop 1
	;; [unrolled: 4-line block ×4, first 2 shown]
	v_mov_b32_dpp v18, v16 row_bcast:15 row_mask:0xa bank_mask:0xf
	v_mov_b32_dpp v19, v17 row_bcast:15 row_mask:0xa bank_mask:0xf
	s_and_saveexec_b64 s[24:25], s[0:1]
	s_cbranch_execz .LBB31_15
; %bb.33:                               ;   in Loop: Header=BB31_17 Depth=1
	v_mul_f32_e32 v1, v15, v15
	v_fmac_f32_e32 v1, v14, v14
	v_div_scale_f32 v20, s[26:27], v1, v1, 1.0
	v_rcp_f32_e32 v21, v20
	v_div_scale_f32 v30, vcc, 1.0, v1, 1.0
	v_pk_add_f32 v[16:17], v[16:17], v[18:19]
	v_fma_f32 v31, -v20, v21, 1.0
	v_fmac_f32_e32 v21, v31, v21
	v_mul_f32_e32 v31, v30, v21
	v_fma_f32 v32, -v20, v31, v30
	v_fmac_f32_e32 v31, v32, v21
	v_fma_f32 v20, -v20, v31, v30
	v_div_fmas_f32 v20, v20, v21, v31
	v_div_fixup_f32 v1, v20, v1, 1.0
	v_fma_f32 v20, 0, v15, v14
	v_fma_f32 v14, v14, 0, -v15
	v_mul_f32_e32 v14, v14, v1
	v_pk_add_f32 v[12:13], v[12:13], v[16:17] neg_lo:[0,1] neg_hi:[0,1]
	v_mul_f32_e32 v20, v20, v1
	v_pk_mul_f32 v[14:15], v[14:15], v[12:13] op_sel:[0,1] op_sel_hi:[0,0] neg_lo:[0,1]
	v_pk_fma_f32 v[12:13], v[12:13], v[20:21], v[14:15] op_sel_hi:[1,0,1]
	v_xor_b32_e32 v14, 0x80000000, v13
	v_pk_fma_f32 v[8:9], v[12:13], v[12:13], v[8:9] op_sel:[1,0,0] op_sel_hi:[0,0,1]
	v_mov_b32_e32 v15, v13
	v_pk_fma_f32 v[8:9], v[12:13], v[14:15], v[8:9]
	global_store_dwordx2 v[10:11], v[12:13], off
	s_branch .LBB31_15
.LBB31_34:
	s_or_b64 exec, exec, s[10:11]
.LBB31_35:
	s_or_b64 exec, exec, s[6:7]
	v_cmp_eq_u32_e64 s[0:1], 31, v7
	v_cmp_lt_i32_e32 vcc, -1, v6
	s_and_b64 s[2:3], s[0:1], vcc
	s_and_saveexec_b64 s[6:7], s[2:3]
	s_cbranch_execz .LBB31_52
; %bb.36:
	v_mov_b32_e32 v7, 0
	v_lshlrev_b64 v[0:1], 3, v[6:7]
	v_mov_b32_e32 v5, s21
	v_add_co_u32_e32 v0, vcc, s20, v0
	v_addc_co_u32_e32 v1, vcc, v5, v1, vcc
	global_load_dwordx2 v[6:7], v[0:1], off
	s_load_dwordx2 s[2:3], s[4:5], 0x48
	v_add_u32_e32 v4, s33, v4
	s_waitcnt lgkmcnt(0)
	v_mul_f64 v[10:11], s[2:3], s[2:3]
	s_waitcnt vmcnt(0)
	v_pk_add_f32 v[6:7], v[6:7], v[8:9] op_sel:[1,0] op_sel_hi:[0,1] neg_lo:[0,1] neg_hi:[0,1]
	v_cvt_f64_f32_e32 v[8:9], v7
	v_cmp_eq_f32_e32 vcc, 0, v6
	v_cmp_ge_f64_e64 s[2:3], v[10:11], v[8:9]
	s_and_b64 s[4:5], s[2:3], vcc
	s_and_saveexec_b64 s[2:3], s[4:5]
	s_cbranch_execz .LBB31_41
; %bb.37:
	s_mov_b64 s[4:5], exec
	s_brev_b32 s10, -2
.LBB31_38:                              ; =>This Inner Loop Header: Depth=1
	s_ff1_i32_b64 s11, s[4:5]
	v_readlane_b32 s18, v4, s11
	s_lshl_b64 s[16:17], 1, s11
	s_min_i32 s10, s10, s18
	s_andn2_b64 s[4:5], s[4:5], s[16:17]
	s_cmp_lg_u64 s[4:5], 0
	s_cbranch_scc1 .LBB31_38
; %bb.39:
	v_mbcnt_lo_u32_b32 v5, exec_lo, 0
	v_mbcnt_hi_u32_b32 v5, exec_hi, v5
	v_cmp_eq_u32_e32 vcc, 0, v5
	s_and_saveexec_b64 s[4:5], vcc
	s_xor_b64 s[4:5], exec, s[4:5]
	s_cbranch_execz .LBB31_41
; %bb.40:
	v_mov_b32_e32 v5, 0
	v_mov_b32_e32 v8, s10
	global_atomic_smin v5, v8, s[14:15]
.LBB31_41:
	s_or_b64 exec, exec, s[2:3]
	v_cmp_gt_f32_e32 vcc, 0, v6
	v_cndmask_b32_e64 v5, v6, -v6, vcc
	v_cmp_gt_f32_e32 vcc, 0, v7
	v_cndmask_b32_e64 v7, v7, -v7, vcc
	v_cmp_ngt_f32_e32 vcc, v7, v5
                                        ; implicit-def: $vgpr8
	s_and_saveexec_b64 s[2:3], vcc
	s_xor_b64 s[4:5], exec, s[2:3]
	s_cbranch_execz .LBB31_45
; %bb.42:
	v_cmp_neq_f32_e32 vcc, 0, v6
	v_mov_b32_e32 v8, 0
	s_and_saveexec_b64 s[10:11], vcc
	s_cbranch_execz .LBB31_44
; %bb.43:
	v_div_scale_f32 v6, s[2:3], v5, v5, v7
	v_rcp_f32_e32 v8, v6
	v_div_scale_f32 v9, vcc, v7, v5, v7
	s_mov_b32 s2, 0xf800000
	v_fma_f32 v10, -v6, v8, 1.0
	v_fmac_f32_e32 v8, v10, v8
	v_mul_f32_e32 v10, v9, v8
	v_fma_f32 v11, -v6, v10, v9
	v_fmac_f32_e32 v10, v11, v8
	v_fma_f32 v6, -v6, v10, v9
	v_div_fmas_f32 v6, v6, v8, v10
	v_div_fixup_f32 v6, v6, v5, v7
	v_fma_f32 v6, v6, v6, 1.0
	v_mul_f32_e32 v7, 0x4f800000, v6
	v_cmp_gt_f32_e32 vcc, s2, v6
	v_cndmask_b32_e32 v6, v6, v7, vcc
	v_sqrt_f32_e32 v7, v6
	v_add_u32_e32 v8, -1, v7
	v_fma_f32 v9, -v8, v7, v6
	v_cmp_ge_f32_e64 s[2:3], 0, v9
	v_add_u32_e32 v9, 1, v7
	v_cndmask_b32_e64 v8, v7, v8, s[2:3]
	v_fma_f32 v7, -v9, v7, v6
	v_cmp_lt_f32_e64 s[2:3], 0, v7
	v_cndmask_b32_e64 v7, v8, v9, s[2:3]
	v_mul_f32_e32 v8, 0x37800000, v7
	v_cndmask_b32_e32 v7, v7, v8, vcc
	v_mov_b32_e32 v8, 0x260
	v_cmp_class_f32_e32 vcc, v6, v8
	v_cndmask_b32_e32 v6, v7, v6, vcc
	v_mul_f32_e32 v8, v5, v6
.LBB31_44:
	s_or_b64 exec, exec, s[10:11]
                                        ; implicit-def: $vgpr7
                                        ; implicit-def: $vgpr5
.LBB31_45:
	s_andn2_saveexec_b64 s[4:5], s[4:5]
	s_cbranch_execz .LBB31_47
; %bb.46:
	v_div_scale_f32 v6, s[2:3], v7, v7, v5
	v_rcp_f32_e32 v8, v6
	v_div_scale_f32 v9, vcc, v5, v7, v5
	s_mov_b32 s2, 0xf800000
	v_fma_f32 v10, -v6, v8, 1.0
	v_fmac_f32_e32 v8, v10, v8
	v_mul_f32_e32 v10, v9, v8
	v_fma_f32 v11, -v6, v10, v9
	v_fmac_f32_e32 v10, v11, v8
	v_fma_f32 v6, -v6, v10, v9
	v_div_fmas_f32 v6, v6, v8, v10
	v_div_fixup_f32 v5, v6, v7, v5
	v_fma_f32 v5, v5, v5, 1.0
	v_mul_f32_e32 v6, 0x4f800000, v5
	v_cmp_gt_f32_e32 vcc, s2, v5
	v_cndmask_b32_e32 v5, v5, v6, vcc
	v_sqrt_f32_e32 v6, v5
	v_add_u32_e32 v8, -1, v6
	v_fma_f32 v9, -v8, v6, v5
	v_cmp_ge_f32_e64 s[2:3], 0, v9
	v_add_u32_e32 v9, 1, v6
	v_cndmask_b32_e64 v8, v6, v8, s[2:3]
	v_fma_f32 v6, -v9, v6, v5
	v_cmp_lt_f32_e64 s[2:3], 0, v6
	v_cndmask_b32_e64 v6, v8, v9, s[2:3]
	v_mul_f32_e32 v8, 0x37800000, v6
	v_cndmask_b32_e32 v6, v6, v8, vcc
	v_mov_b32_e32 v8, 0x260
	v_cmp_class_f32_e32 vcc, v5, v8
	v_cndmask_b32_e32 v5, v6, v5, vcc
	v_mul_f32_e32 v8, v7, v5
.LBB31_47:
	s_or_b64 exec, exec, s[4:5]
	s_mov_b32 s2, 0xf800000
	v_mul_f32_e32 v5, 0x4f800000, v8
	v_cmp_gt_f32_e32 vcc, s2, v8
	v_cndmask_b32_e32 v5, v8, v5, vcc
	v_sqrt_f32_e32 v6, v5
	v_add_u32_e32 v7, -1, v6
	v_fma_f32 v8, -v7, v6, v5
	v_cmp_ge_f32_e64 s[2:3], 0, v8
	v_add_u32_e32 v8, 1, v6
	v_cndmask_b32_e64 v7, v6, v7, s[2:3]
	v_fma_f32 v6, -v8, v6, v5
	v_cmp_lt_f32_e64 s[2:3], 0, v6
	v_cndmask_b32_e64 v6, v7, v8, s[2:3]
	v_mul_f32_e32 v7, 0x37800000, v6
	v_cndmask_b32_e32 v6, v6, v7, vcc
	v_mov_b32_e32 v7, 0x260
	v_cmp_class_f32_e32 vcc, v5, v7
	v_cndmask_b32_e32 v6, v6, v5, vcc
	v_mov_b32_e32 v7, 0
	v_cmp_eq_f32_e32 vcc, 0, v6
	global_store_dwordx2 v[0:1], v[6:7], off
	s_and_b64 exec, exec, vcc
	s_cbranch_execz .LBB31_52
; %bb.48:
	s_mov_b64 s[2:3], exec
	s_brev_b32 s4, -2
.LBB31_49:                              ; =>This Inner Loop Header: Depth=1
	s_ff1_i32_b64 s5, s[2:3]
	v_readlane_b32 s14, v4, s5
	s_lshl_b64 s[10:11], 1, s5
	s_min_i32 s4, s4, s14
	s_andn2_b64 s[2:3], s[2:3], s[10:11]
	s_cmp_lg_u64 s[2:3], 0
	s_cbranch_scc1 .LBB31_49
; %bb.50:
	v_mbcnt_lo_u32_b32 v0, exec_lo, 0
	v_mbcnt_hi_u32_b32 v0, exec_hi, v0
	v_cmp_eq_u32_e32 vcc, 0, v0
	s_and_saveexec_b64 s[2:3], vcc
	s_xor_b64 s[2:3], exec, s[2:3]
	s_cbranch_execz .LBB31_52
; %bb.51:
	v_mov_b32_e32 v0, 0
	v_mov_b32_e32 v1, s4
	global_atomic_smin v0, v1, s[12:13]
.LBB31_52:
	s_or_b64 exec, exec, s[6:7]
	s_and_b64 exec, exec, s[0:1]
	s_cbranch_execz .LBB31_54
; %bb.53:
	v_mov_b32_e32 v1, s9
	v_add_co_u32_e32 v0, vcc, s8, v2
	v_addc_co_u32_e32 v1, vcc, v1, v3, vcc
	v_mov_b32_e32 v2, 1
	s_waitcnt vmcnt(0)
	global_store_dword v[0:1], v2, off
.LBB31_54:
	s_endpgm
	.section	.rodata,"a",@progbits
	.p2align	6, 0x0
	.amdhsa_kernel _ZN9rocsparseL18csric0_hash_kernelILj256ELj32ELj16E21rocsparse_complex_numIfEEEviPKiS4_PT2_S4_PiS4_S7_S7_d21rocsparse_index_base_
		.amdhsa_group_segment_fixed_size 32768
		.amdhsa_private_segment_fixed_size 0
		.amdhsa_kernarg_size 84
		.amdhsa_user_sgpr_count 6
		.amdhsa_user_sgpr_private_segment_buffer 1
		.amdhsa_user_sgpr_dispatch_ptr 0
		.amdhsa_user_sgpr_queue_ptr 0
		.amdhsa_user_sgpr_kernarg_segment_ptr 1
		.amdhsa_user_sgpr_dispatch_id 0
		.amdhsa_user_sgpr_flat_scratch_init 0
		.amdhsa_user_sgpr_kernarg_preload_length 0
		.amdhsa_user_sgpr_kernarg_preload_offset 0
		.amdhsa_user_sgpr_private_segment_size 0
		.amdhsa_uses_dynamic_stack 0
		.amdhsa_system_sgpr_private_segment_wavefront_offset 0
		.amdhsa_system_sgpr_workgroup_id_x 1
		.amdhsa_system_sgpr_workgroup_id_y 0
		.amdhsa_system_sgpr_workgroup_id_z 0
		.amdhsa_system_sgpr_workgroup_info 0
		.amdhsa_system_vgpr_workitem_id 0
		.amdhsa_next_free_vgpr 38
		.amdhsa_next_free_sgpr 44
		.amdhsa_accum_offset 40
		.amdhsa_reserve_vcc 1
		.amdhsa_reserve_flat_scratch 0
		.amdhsa_float_round_mode_32 0
		.amdhsa_float_round_mode_16_64 0
		.amdhsa_float_denorm_mode_32 3
		.amdhsa_float_denorm_mode_16_64 3
		.amdhsa_dx10_clamp 1
		.amdhsa_ieee_mode 1
		.amdhsa_fp16_overflow 0
		.amdhsa_tg_split 0
		.amdhsa_exception_fp_ieee_invalid_op 0
		.amdhsa_exception_fp_denorm_src 0
		.amdhsa_exception_fp_ieee_div_zero 0
		.amdhsa_exception_fp_ieee_overflow 0
		.amdhsa_exception_fp_ieee_underflow 0
		.amdhsa_exception_fp_ieee_inexact 0
		.amdhsa_exception_int_div_zero 0
	.end_amdhsa_kernel
	.section	.text._ZN9rocsparseL18csric0_hash_kernelILj256ELj32ELj16E21rocsparse_complex_numIfEEEviPKiS4_PT2_S4_PiS4_S7_S7_d21rocsparse_index_base_,"axG",@progbits,_ZN9rocsparseL18csric0_hash_kernelILj256ELj32ELj16E21rocsparse_complex_numIfEEEviPKiS4_PT2_S4_PiS4_S7_S7_d21rocsparse_index_base_,comdat
.Lfunc_end31:
	.size	_ZN9rocsparseL18csric0_hash_kernelILj256ELj32ELj16E21rocsparse_complex_numIfEEEviPKiS4_PT2_S4_PiS4_S7_S7_d21rocsparse_index_base_, .Lfunc_end31-_ZN9rocsparseL18csric0_hash_kernelILj256ELj32ELj16E21rocsparse_complex_numIfEEEviPKiS4_PT2_S4_PiS4_S7_S7_d21rocsparse_index_base_
                                        ; -- End function
	.section	.AMDGPU.csdata,"",@progbits
; Kernel info:
; codeLenInByte = 2568
; NumSgprs: 48
; NumVgprs: 38
; NumAgprs: 0
; TotalNumVgprs: 38
; ScratchSize: 0
; MemoryBound: 0
; FloatMode: 240
; IeeeMode: 1
; LDSByteSize: 32768 bytes/workgroup (compile time only)
; SGPRBlocks: 5
; VGPRBlocks: 4
; NumSGPRsForWavesPerEU: 48
; NumVGPRsForWavesPerEU: 38
; AccumOffset: 40
; Occupancy: 2
; WaveLimiterHint : 1
; COMPUTE_PGM_RSRC2:SCRATCH_EN: 0
; COMPUTE_PGM_RSRC2:USER_SGPR: 6
; COMPUTE_PGM_RSRC2:TRAP_HANDLER: 0
; COMPUTE_PGM_RSRC2:TGID_X_EN: 1
; COMPUTE_PGM_RSRC2:TGID_Y_EN: 0
; COMPUTE_PGM_RSRC2:TGID_Z_EN: 0
; COMPUTE_PGM_RSRC2:TIDIG_COMP_CNT: 0
; COMPUTE_PGM_RSRC3_GFX90A:ACCUM_OFFSET: 9
; COMPUTE_PGM_RSRC3_GFX90A:TG_SPLIT: 0
	.section	.text._ZN9rocsparseL23csric0_binsearch_kernelILj256ELj32ELb0E21rocsparse_complex_numIfEEEviPKiS4_PT2_S4_PiS4_S7_S7_d21rocsparse_index_base_,"axG",@progbits,_ZN9rocsparseL23csric0_binsearch_kernelILj256ELj32ELb0E21rocsparse_complex_numIfEEEviPKiS4_PT2_S4_PiS4_S7_S7_d21rocsparse_index_base_,comdat
	.globl	_ZN9rocsparseL23csric0_binsearch_kernelILj256ELj32ELb0E21rocsparse_complex_numIfEEEviPKiS4_PT2_S4_PiS4_S7_S7_d21rocsparse_index_base_ ; -- Begin function _ZN9rocsparseL23csric0_binsearch_kernelILj256ELj32ELb0E21rocsparse_complex_numIfEEEviPKiS4_PT2_S4_PiS4_S7_S7_d21rocsparse_index_base_
	.p2align	8
	.type	_ZN9rocsparseL23csric0_binsearch_kernelILj256ELj32ELb0E21rocsparse_complex_numIfEEEviPKiS4_PT2_S4_PiS4_S7_S7_d21rocsparse_index_base_,@function
_ZN9rocsparseL23csric0_binsearch_kernelILj256ELj32ELb0E21rocsparse_complex_numIfEEEviPKiS4_PT2_S4_PiS4_S7_S7_d21rocsparse_index_base_: ; @_ZN9rocsparseL23csric0_binsearch_kernelILj256ELj32ELb0E21rocsparse_complex_numIfEEEviPKiS4_PT2_S4_PiS4_S7_S7_d21rocsparse_index_base_
; %bb.0:
	s_load_dword s0, s[4:5], 0x0
	s_lshl_b32 s1, s6, 3
	v_lshrrev_b32_e32 v1, 5, v0
	s_and_b32 s1, s1, 0x7fffff8
	v_or_b32_e32 v1, s1, v1
	s_waitcnt lgkmcnt(0)
	v_cmp_gt_i32_e32 vcc, s0, v1
	s_and_saveexec_b64 s[0:1], vcc
	s_cbranch_execz .LBB32_54
; %bb.1:
	s_load_dwordx8 s[8:15], s[4:5], 0x18
	v_lshlrev_b32_e32 v1, 2, v1
	s_load_dwordx2 s[20:21], s[4:5], 0x8
	s_waitcnt lgkmcnt(0)
	global_load_dword v4, v1, s[14:15]
	v_mov_b32_e32 v1, s11
	v_mov_b32_e32 v6, s21
	s_waitcnt vmcnt(0)
	v_ashrrev_i32_e32 v5, 31, v4
	v_lshlrev_b64 v[2:3], 2, v[4:5]
	v_add_co_u32_e32 v10, vcc, s10, v2
	v_addc_co_u32_e32 v11, vcc, v1, v3, vcc
	v_add_co_u32_e32 v8, vcc, s20, v2
	v_addc_co_u32_e32 v9, vcc, v6, v3, vcc
	global_load_dword v7, v[8:9], off
	global_load_dword v6, v[10:11], off
	s_load_dword s33, s[4:5], 0x50
	s_load_dwordx4 s[16:19], s[4:5], 0x38
	s_load_dwordx2 s[14:15], s[4:5], 0x48
	v_mov_b32_e32 v1, 0
	v_and_b32_e32 v5, 31, v0
	v_mov_b32_e32 v0, v1
	s_waitcnt vmcnt(1) lgkmcnt(0)
	v_subrev_u32_e32 v7, s33, v7
	s_waitcnt vmcnt(0)
	v_cmp_lt_i32_e32 vcc, v7, v6
	s_and_saveexec_b64 s[22:23], vcc
	s_cbranch_execz .LBB32_35
; %bb.2:
	global_load_dword v1, v[8:9], off offset:4
	s_load_dwordx2 s[24:25], s[4:5], 0x10
	v_mov_b32_e32 v0, 0
	v_add_u32_e32 v24, -1, v6
	v_cmp_eq_u32_e64 s[0:1], 0, v5
	v_subrev_u32_e32 v25, s33, v5
	v_cmp_eq_u32_e64 s[2:3], 31, v5
	s_mov_b64 s[26:27], 0
	v_mov_b32_e32 v26, s9
	v_mov_b32_e32 v27, s21
	;; [unrolled: 1-line block ×6, first 2 shown]
	s_waitcnt lgkmcnt(0)
	v_mov_b32_e32 v31, s25
	s_waitcnt vmcnt(0)
	v_xad_u32 v32, s33, -1, v1
	v_mov_b32_e32 v1, v0
	s_branch .LBB32_5
.LBB32_3:                               ;   in Loop: Header=BB32_5 Depth=1
	s_or_b64 exec, exec, s[28:29]
.LBB32_4:                               ;   in Loop: Header=BB32_5 Depth=1
	s_or_b64 exec, exec, s[4:5]
	v_add_u32_e32 v8, 1, v8
	v_cmp_ge_i32_e32 vcc, v8, v6
	s_or_b64 s[4:5], s[6:7], vcc
	s_and_b64 s[4:5], exec, s[4:5]
	s_or_b64 s[26:27], s[4:5], s[26:27]
	s_andn2_b64 exec, exec, s[26:27]
	s_cbranch_execz .LBB32_34
.LBB32_5:                               ; =>This Loop Header: Depth=1
                                        ;     Child Loop BB32_7 Depth 2
                                        ;     Child Loop BB32_11 Depth 2
	;; [unrolled: 1-line block ×4, first 2 shown]
                                        ;       Child Loop BB32_27 Depth 3
	v_ashrrev_i32_e32 v9, 31, v8
	v_lshlrev_b64 v[10:11], 2, v[8:9]
	v_add_co_u32_e32 v10, vcc, s24, v10
	v_addc_co_u32_e32 v11, vcc, v31, v11, vcc
	global_load_dword v18, v[10:11], off
	v_lshlrev_b64 v[10:11], 3, v[8:9]
	v_add_co_u32_e32 v10, vcc, s8, v10
	v_addc_co_u32_e32 v11, vcc, v26, v11, vcc
	global_load_dwordx2 v[12:13], v[10:11], off
	s_waitcnt vmcnt(1)
	v_subrev_u32_e32 v14, s33, v18
	v_ashrrev_i32_e32 v15, 31, v14
	v_lshlrev_b64 v[14:15], 2, v[14:15]
	v_add_co_u32_e32 v20, vcc, s20, v14
	v_addc_co_u32_e32 v21, vcc, v27, v15, vcc
	v_add_co_u32_e32 v22, vcc, s10, v14
	v_addc_co_u32_e32 v23, vcc, v28, v15, vcc
	v_add_co_u32_e32 v14, vcc, s12, v14
	v_addc_co_u32_e32 v15, vcc, v29, v15, vcc
	global_load_dword v9, v[20:21], off
	global_load_dword v16, v[22:23], off
	global_load_dword v17, v[14:15], off glc
	s_waitcnt vmcnt(0)
	v_cmp_eq_u32_e32 vcc, 0, v17
	s_and_saveexec_b64 s[4:5], vcc
	s_cbranch_execz .LBB32_8
; %bb.6:                                ;   in Loop: Header=BB32_5 Depth=1
	s_mov_b64 s[6:7], 0
.LBB32_7:                               ;   Parent Loop BB32_5 Depth=1
                                        ; =>  This Inner Loop Header: Depth=2
	global_load_dword v17, v[14:15], off glc
	s_waitcnt vmcnt(0)
	v_cmp_ne_u32_e32 vcc, 0, v17
	s_or_b64 s[6:7], vcc, s[6:7]
	s_andn2_b64 exec, exec, s[6:7]
	s_cbranch_execnz .LBB32_7
.LBB32_8:                               ;   in Loop: Header=BB32_5 Depth=1
	s_or_b64 exec, exec, s[4:5]
	v_cmp_eq_u32_e32 vcc, -1, v16
	v_cndmask_b32_e32 v16, v16, v24, vcc
	v_ashrrev_i32_e32 v17, 31, v16
	v_lshlrev_b64 v[14:15], 3, v[16:17]
	v_add_co_u32_e32 v14, vcc, s8, v14
	v_addc_co_u32_e32 v15, vcc, v26, v15, vcc
	buffer_wbinvl1_vol
	global_load_dwordx2 v[14:15], v[14:15], off
	s_waitcnt vmcnt(0)
	v_cmp_neq_f32_e64 s[4:5], 0, v14
	v_cmp_neq_f32_e64 s[6:7], 0, v15
	s_or_b64 s[4:5], s[4:5], s[6:7]
	v_cmp_eq_f32_e32 vcc, 0, v15
	s_xor_b64 s[6:7], s[4:5], -1
	s_and_saveexec_b64 s[4:5], s[6:7]
	s_xor_b64 s[28:29], exec, s[4:5]
	s_cbranch_execz .LBB32_15
; %bb.9:                                ;   in Loop: Header=BB32_5 Depth=1
	s_and_saveexec_b64 s[30:31], s[0:1]
	s_cbranch_execz .LBB32_14
; %bb.10:                               ;   in Loop: Header=BB32_5 Depth=1
	s_mov_b64 s[4:5], exec
	s_brev_b32 s11, -2
.LBB32_11:                              ;   Parent Loop BB32_5 Depth=1
                                        ; =>  This Inner Loop Header: Depth=2
	s_ff1_i32_b64 s21, s[4:5]
	v_readlane_b32 s36, v18, s21
	s_lshl_b64 s[34:35], 1, s21
	s_min_i32 s11, s11, s36
	s_andn2_b64 s[4:5], s[4:5], s[34:35]
	s_cmp_lg_u64 s[4:5], 0
	s_cbranch_scc1 .LBB32_11
; %bb.12:                               ;   in Loop: Header=BB32_5 Depth=1
	v_mbcnt_lo_u32_b32 v9, exec_lo, 0
	v_mbcnt_hi_u32_b32 v9, exec_hi, v9
	v_cmp_eq_u32_e64 s[4:5], 0, v9
	s_and_saveexec_b64 s[34:35], s[4:5]
	s_xor_b64 s[34:35], exec, s[34:35]
	s_cbranch_execz .LBB32_14
; %bb.13:                               ;   in Loop: Header=BB32_5 Depth=1
	v_mov_b32_e32 v9, s11
	global_atomic_smin v30, v9, s[16:17]
.LBB32_14:                              ;   in Loop: Header=BB32_5 Depth=1
	s_or_b64 exec, exec, s[30:31]
                                        ; implicit-def: $vgpr14_vgpr15
                                        ; implicit-def: $vgpr12_vgpr13
                                        ; implicit-def: $vgpr10_vgpr11
                                        ; implicit-def: $vgpr9
                                        ; implicit-def: $vgpr16
                                        ; implicit-def: $vgpr18
.LBB32_15:                              ;   in Loop: Header=BB32_5 Depth=1
	s_andn2_saveexec_b64 s[4:5], s[28:29]
	s_cbranch_execz .LBB32_4
; %bb.16:                               ;   in Loop: Header=BB32_5 Depth=1
	s_and_saveexec_b64 s[28:29], vcc
	s_cbranch_execz .LBB32_22
; %bb.17:                               ;   in Loop: Header=BB32_5 Depth=1
	v_cvt_f64_f32_e32 v[20:21], v14
	v_cmp_ge_f64_e32 vcc, s[14:15], v[20:21]
	s_and_b64 s[30:31], s[0:1], vcc
	s_and_b64 exec, exec, s[30:31]
	s_cbranch_execz .LBB32_22
; %bb.18:                               ;   in Loop: Header=BB32_5 Depth=1
	s_mov_b64 s[30:31], exec
	s_brev_b32 s11, -2
.LBB32_19:                              ;   Parent Loop BB32_5 Depth=1
                                        ; =>  This Inner Loop Header: Depth=2
	s_ff1_i32_b64 s21, s[30:31]
	v_readlane_b32 s36, v18, s21
	s_lshl_b64 s[34:35], 1, s21
	s_min_i32 s11, s11, s36
	s_andn2_b64 s[30:31], s[30:31], s[34:35]
	s_cmp_lg_u64 s[30:31], 0
	s_cbranch_scc1 .LBB32_19
; %bb.20:                               ;   in Loop: Header=BB32_5 Depth=1
	v_mbcnt_lo_u32_b32 v17, exec_lo, 0
	v_mbcnt_hi_u32_b32 v17, exec_hi, v17
	v_cmp_eq_u32_e32 vcc, 0, v17
	s_and_saveexec_b64 s[30:31], vcc
	s_xor_b64 s[30:31], exec, s[30:31]
	s_cbranch_execz .LBB32_22
; %bb.21:                               ;   in Loop: Header=BB32_5 Depth=1
	v_mov_b32_e32 v17, s11
	global_atomic_smin v30, v17, s[18:19]
.LBB32_22:                              ;   in Loop: Header=BB32_5 Depth=1
	s_or_b64 exec, exec, s[28:29]
	v_add_u32_e32 v20, v25, v9
	v_mov_b32_e32 v19, 0
	v_cmp_lt_i32_e32 vcc, v20, v16
	v_mov_b32_e32 v18, v19
	s_and_saveexec_b64 s[28:29], vcc
	s_cbranch_execz .LBB32_32
; %bb.23:                               ;   in Loop: Header=BB32_5 Depth=1
	v_mov_b32_e32 v18, 0
	s_mov_b64 s[30:31], 0
	v_mov_b32_e32 v9, v7
	v_mov_b32_e32 v19, v18
	s_branch .LBB32_25
.LBB32_24:                              ;   in Loop: Header=BB32_25 Depth=2
	s_or_b64 exec, exec, s[34:35]
	v_add_u32_e32 v20, 32, v20
	v_cmp_ge_i32_e32 vcc, v20, v16
	s_or_b64 s[30:31], vcc, s[30:31]
	s_andn2_b64 exec, exec, s[30:31]
	s_cbranch_execz .LBB32_31
.LBB32_25:                              ;   Parent Loop BB32_5 Depth=1
                                        ; =>  This Loop Header: Depth=2
                                        ;       Child Loop BB32_27 Depth 3
	v_ashrrev_i32_e32 v21, 31, v20
	v_add_u32_e32 v17, v9, v32
	v_lshlrev_b64 v[22:23], 2, v[20:21]
	v_mov_b32_e32 v33, s25
	v_add_co_u32_e32 v34, vcc, s24, v22
	v_ashrrev_i32_e32 v22, 1, v17
	v_addc_co_u32_e32 v35, vcc, v33, v23, vcc
	v_ashrrev_i32_e32 v23, 31, v22
	v_lshlrev_b64 v[36:37], 2, v[22:23]
	v_add_co_u32_e32 v36, vcc, s24, v36
	v_addc_co_u32_e32 v37, vcc, v33, v37, vcc
	global_load_dword v17, v[34:35], off
	global_load_dword v33, v[36:37], off
	v_cmp_lt_i32_e32 vcc, v9, v32
	s_and_saveexec_b64 s[34:35], vcc
	s_cbranch_execz .LBB32_29
; %bb.26:                               ;   in Loop: Header=BB32_25 Depth=2
	s_mov_b64 s[36:37], 0
	v_mov_b32_e32 v34, v32
.LBB32_27:                              ;   Parent Loop BB32_5 Depth=1
                                        ;     Parent Loop BB32_25 Depth=2
                                        ; =>    This Inner Loop Header: Depth=3
	v_add_u32_e32 v23, 1, v22
	s_waitcnt vmcnt(0)
	v_cmp_lt_i32_e32 vcc, v33, v17
	v_cndmask_b32_e32 v34, v22, v34, vcc
	v_cndmask_b32_e32 v9, v9, v23, vcc
	v_add_u32_e32 v22, v34, v9
	v_ashrrev_i32_e32 v22, 1, v22
	v_ashrrev_i32_e32 v23, 31, v22
	v_lshlrev_b64 v[36:37], 2, v[22:23]
	v_mov_b32_e32 v33, s25
	v_add_co_u32_e32 v36, vcc, s24, v36
	v_addc_co_u32_e32 v37, vcc, v33, v37, vcc
	global_load_dword v33, v[36:37], off
	v_cmp_ge_i32_e32 vcc, v9, v34
	s_or_b64 s[36:37], vcc, s[36:37]
	s_andn2_b64 exec, exec, s[36:37]
	s_cbranch_execnz .LBB32_27
; %bb.28:                               ;   in Loop: Header=BB32_25 Depth=2
	s_or_b64 exec, exec, s[36:37]
.LBB32_29:                              ;   in Loop: Header=BB32_25 Depth=2
	s_or_b64 exec, exec, s[34:35]
	s_waitcnt vmcnt(0)
	v_cmp_eq_u32_e32 vcc, v33, v17
	s_and_saveexec_b64 s[34:35], vcc
	s_cbranch_execz .LBB32_24
; %bb.30:                               ;   in Loop: Header=BB32_25 Depth=2
	v_lshlrev_b64 v[34:35], 3, v[20:21]
	v_mov_b32_e32 v17, s9
	v_add_co_u32_e32 v34, vcc, s8, v34
	v_addc_co_u32_e32 v35, vcc, v17, v35, vcc
	v_lshlrev_b64 v[22:23], 3, v[22:23]
	v_add_co_u32_e32 v22, vcc, s8, v22
	v_addc_co_u32_e32 v23, vcc, v17, v23, vcc
	global_load_dwordx2 v[36:37], v[22:23], off
	global_load_dwordx2 v[38:39], v[34:35], off
	s_waitcnt vmcnt(0)
	v_pk_fma_f32 v[18:19], v[38:39], v[36:37], v[18:19] op_sel:[1,0,0] op_sel_hi:[0,0,1]
	v_pk_fma_f32 v[18:19], v[38:39], v[36:37], v[18:19] op_sel:[0,1,0] neg_lo:[0,1,0]
	s_branch .LBB32_24
.LBB32_31:                              ;   in Loop: Header=BB32_5 Depth=1
	s_or_b64 exec, exec, s[30:31]
.LBB32_32:                              ;   in Loop: Header=BB32_5 Depth=1
	s_or_b64 exec, exec, s[28:29]
	v_mov_b32_e32 v16, v19
	v_mov_b32_e32 v17, v18
	v_mov_b32_dpp v20, v19 row_shr:1 row_mask:0xf bank_mask:0xf
	v_mov_b32_dpp v21, v18 row_shr:1 row_mask:0xf bank_mask:0xf
	v_pk_add_f32 v[16:17], v[16:17], v[20:21]
	s_nop 1
	v_mov_b32_dpp v18, v16 row_shr:2 row_mask:0xf bank_mask:0xf
	v_mov_b32_dpp v19, v17 row_shr:2 row_mask:0xf bank_mask:0xf
	v_pk_add_f32 v[16:17], v[16:17], v[18:19]
	s_nop 1
	;; [unrolled: 4-line block ×4, first 2 shown]
	v_mov_b32_dpp v18, v16 row_bcast:15 row_mask:0xa bank_mask:0xf
	v_mov_b32_dpp v19, v17 row_bcast:15 row_mask:0xa bank_mask:0xf
	s_and_saveexec_b64 s[28:29], s[2:3]
	s_cbranch_execz .LBB32_3
; %bb.33:                               ;   in Loop: Header=BB32_5 Depth=1
	v_mul_f32_e32 v9, v15, v15
	v_fmac_f32_e32 v9, v14, v14
	v_div_scale_f32 v20, s[30:31], v9, v9, 1.0
	v_rcp_f32_e32 v21, v20
	v_div_scale_f32 v22, vcc, 1.0, v9, 1.0
	v_pk_add_f32 v[16:17], v[16:17], v[18:19]
	v_fma_f32 v23, -v20, v21, 1.0
	v_fmac_f32_e32 v21, v23, v21
	v_mul_f32_e32 v23, v22, v21
	v_fma_f32 v33, -v20, v23, v22
	v_fmac_f32_e32 v23, v33, v21
	v_fma_f32 v20, -v20, v23, v22
	v_div_fmas_f32 v20, v20, v21, v23
	v_div_fixup_f32 v9, v20, v9, 1.0
	v_fma_f32 v20, 0, v15, v14
	v_fma_f32 v14, v14, 0, -v15
	v_mul_f32_e32 v14, v14, v9
	v_pk_add_f32 v[12:13], v[12:13], v[16:17] neg_lo:[0,1] neg_hi:[0,1]
	v_mul_f32_e32 v20, v20, v9
	v_pk_mul_f32 v[14:15], v[14:15], v[12:13] op_sel:[0,1] op_sel_hi:[0,0] neg_lo:[0,1]
	v_pk_fma_f32 v[12:13], v[12:13], v[20:21], v[14:15] op_sel_hi:[1,0,1]
	v_xor_b32_e32 v14, 0x80000000, v13
	v_pk_fma_f32 v[0:1], v[12:13], v[12:13], v[0:1] op_sel:[1,0,0] op_sel_hi:[0,0,1]
	v_mov_b32_e32 v15, v13
	v_pk_fma_f32 v[0:1], v[12:13], v[14:15], v[0:1]
	global_store_dwordx2 v[10:11], v[12:13], off
	s_branch .LBB32_3
.LBB32_34:
	s_or_b64 exec, exec, s[26:27]
.LBB32_35:
	s_or_b64 exec, exec, s[22:23]
	v_cmp_eq_u32_e64 s[0:1], 31, v5
	v_cmp_lt_i32_e32 vcc, -1, v6
	s_and_b64 s[2:3], s[0:1], vcc
	s_and_saveexec_b64 s[6:7], s[2:3]
	s_cbranch_execz .LBB32_52
; %bb.36:
	v_mov_b32_e32 v7, 0
	v_lshlrev_b64 v[6:7], 3, v[6:7]
	v_mov_b32_e32 v5, s9
	v_add_co_u32_e32 v6, vcc, s8, v6
	v_addc_co_u32_e32 v7, vcc, v5, v7, vcc
	global_load_dwordx2 v[8:9], v[6:7], off
	v_mul_f64 v[10:11], s[14:15], s[14:15]
	v_add_u32_e32 v4, s33, v4
	s_waitcnt vmcnt(0)
	v_pk_add_f32 v[0:1], v[8:9], v[0:1] op_sel:[1,0] op_sel_hi:[0,1] neg_lo:[0,1] neg_hi:[0,1]
	v_cvt_f64_f32_e32 v[8:9], v1
	v_cmp_eq_f32_e64 s[2:3], 0, v0
	v_cmp_ge_f64_e64 s[4:5], v[10:11], v[8:9]
	v_cmp_neq_f32_e32 vcc, 0, v0
	s_and_b64 s[2:3], s[2:3], s[4:5]
	s_and_saveexec_b64 s[4:5], s[2:3]
	s_cbranch_execz .LBB32_41
; %bb.37:
	s_mov_b64 s[2:3], exec
	s_brev_b32 s8, -2
.LBB32_38:                              ; =>This Inner Loop Header: Depth=1
	s_ff1_i32_b64 s9, s[2:3]
	v_readlane_b32 s14, v4, s9
	s_lshl_b64 s[10:11], 1, s9
	s_min_i32 s8, s8, s14
	s_andn2_b64 s[2:3], s[2:3], s[10:11]
	s_cmp_lg_u64 s[2:3], 0
	s_cbranch_scc1 .LBB32_38
; %bb.39:
	v_mbcnt_lo_u32_b32 v5, exec_lo, 0
	v_mbcnt_hi_u32_b32 v5, exec_hi, v5
	v_cmp_eq_u32_e64 s[2:3], 0, v5
	s_and_saveexec_b64 s[10:11], s[2:3]
	s_xor_b64 s[10:11], exec, s[10:11]
	s_cbranch_execz .LBB32_41
; %bb.40:
	v_mov_b32_e32 v5, 0
	v_mov_b32_e32 v8, s8
	global_atomic_smin v5, v8, s[18:19]
.LBB32_41:
	s_or_b64 exec, exec, s[4:5]
	v_cmp_gt_f32_e64 s[2:3], 0, v0
	v_cndmask_b32_e64 v0, v0, -v0, s[2:3]
	v_cmp_gt_f32_e64 s[2:3], 0, v1
	v_cndmask_b32_e64 v1, v1, -v1, s[2:3]
	v_cmp_ngt_f32_e64 s[2:3], v1, v0
                                        ; implicit-def: $vgpr5
	s_and_saveexec_b64 s[4:5], s[2:3]
	s_xor_b64 s[4:5], exec, s[4:5]
	s_cbranch_execz .LBB32_45
; %bb.42:
	v_mov_b32_e32 v5, 0
	s_and_saveexec_b64 s[8:9], vcc
	s_cbranch_execz .LBB32_44
; %bb.43:
	v_div_scale_f32 v5, s[2:3], v0, v0, v1
	v_rcp_f32_e32 v8, v5
	v_div_scale_f32 v9, vcc, v1, v0, v1
	s_mov_b32 s2, 0xf800000
	v_fma_f32 v10, -v5, v8, 1.0
	v_fmac_f32_e32 v8, v10, v8
	v_mul_f32_e32 v10, v9, v8
	v_fma_f32 v11, -v5, v10, v9
	v_fmac_f32_e32 v10, v11, v8
	v_fma_f32 v5, -v5, v10, v9
	v_div_fmas_f32 v5, v5, v8, v10
	v_div_fixup_f32 v1, v5, v0, v1
	v_fma_f32 v1, v1, v1, 1.0
	v_mul_f32_e32 v5, 0x4f800000, v1
	v_cmp_gt_f32_e32 vcc, s2, v1
	v_cndmask_b32_e32 v1, v1, v5, vcc
	v_sqrt_f32_e32 v5, v1
	v_add_u32_e32 v8, -1, v5
	v_fma_f32 v9, -v8, v5, v1
	v_cmp_ge_f32_e64 s[2:3], 0, v9
	v_add_u32_e32 v9, 1, v5
	v_cndmask_b32_e64 v8, v5, v8, s[2:3]
	v_fma_f32 v5, -v9, v5, v1
	v_cmp_lt_f32_e64 s[2:3], 0, v5
	v_cndmask_b32_e64 v5, v8, v9, s[2:3]
	v_mul_f32_e32 v8, 0x37800000, v5
	v_cndmask_b32_e32 v5, v5, v8, vcc
	v_mov_b32_e32 v8, 0x260
	v_cmp_class_f32_e32 vcc, v1, v8
	v_cndmask_b32_e32 v1, v5, v1, vcc
	v_mul_f32_e32 v5, v0, v1
.LBB32_44:
	s_or_b64 exec, exec, s[8:9]
                                        ; implicit-def: $vgpr1
                                        ; implicit-def: $vgpr0
.LBB32_45:
	s_andn2_saveexec_b64 s[4:5], s[4:5]
	s_cbranch_execz .LBB32_47
; %bb.46:
	v_div_scale_f32 v5, s[2:3], v1, v1, v0
	v_rcp_f32_e32 v8, v5
	v_div_scale_f32 v9, vcc, v0, v1, v0
	s_mov_b32 s2, 0xf800000
	v_fma_f32 v10, -v5, v8, 1.0
	v_fmac_f32_e32 v8, v10, v8
	v_mul_f32_e32 v10, v9, v8
	v_fma_f32 v11, -v5, v10, v9
	v_fmac_f32_e32 v10, v11, v8
	v_fma_f32 v5, -v5, v10, v9
	v_div_fmas_f32 v5, v5, v8, v10
	v_div_fixup_f32 v0, v5, v1, v0
	v_fma_f32 v0, v0, v0, 1.0
	v_mul_f32_e32 v5, 0x4f800000, v0
	v_cmp_gt_f32_e32 vcc, s2, v0
	v_cndmask_b32_e32 v0, v0, v5, vcc
	v_sqrt_f32_e32 v5, v0
	v_add_u32_e32 v8, -1, v5
	v_fma_f32 v9, -v8, v5, v0
	v_cmp_ge_f32_e64 s[2:3], 0, v9
	v_add_u32_e32 v9, 1, v5
	v_cndmask_b32_e64 v8, v5, v8, s[2:3]
	v_fma_f32 v5, -v9, v5, v0
	v_cmp_lt_f32_e64 s[2:3], 0, v5
	v_cndmask_b32_e64 v5, v8, v9, s[2:3]
	v_mul_f32_e32 v8, 0x37800000, v5
	v_cndmask_b32_e32 v5, v5, v8, vcc
	v_mov_b32_e32 v8, 0x260
	v_cmp_class_f32_e32 vcc, v0, v8
	v_cndmask_b32_e32 v0, v5, v0, vcc
	v_mul_f32_e32 v5, v1, v0
.LBB32_47:
	s_or_b64 exec, exec, s[4:5]
	s_mov_b32 s2, 0xf800000
	v_mul_f32_e32 v0, 0x4f800000, v5
	v_cmp_gt_f32_e32 vcc, s2, v5
	v_cndmask_b32_e32 v0, v5, v0, vcc
	v_sqrt_f32_e32 v1, v0
	v_add_u32_e32 v5, -1, v1
	v_fma_f32 v8, -v5, v1, v0
	v_cmp_ge_f32_e64 s[2:3], 0, v8
	v_add_u32_e32 v8, 1, v1
	v_cndmask_b32_e64 v5, v1, v5, s[2:3]
	v_fma_f32 v1, -v8, v1, v0
	v_cmp_lt_f32_e64 s[2:3], 0, v1
	v_cndmask_b32_e64 v1, v5, v8, s[2:3]
	v_mul_f32_e32 v5, 0x37800000, v1
	v_cndmask_b32_e32 v1, v1, v5, vcc
	v_mov_b32_e32 v5, 0x260
	v_cmp_class_f32_e32 vcc, v0, v5
	v_cndmask_b32_e32 v0, v1, v0, vcc
	v_mov_b32_e32 v1, 0
	v_cmp_eq_f32_e32 vcc, 0, v0
	global_store_dwordx2 v[6:7], v[0:1], off
	s_and_b64 exec, exec, vcc
	s_cbranch_execz .LBB32_52
; %bb.48:
	s_mov_b64 s[2:3], exec
	s_brev_b32 s4, -2
.LBB32_49:                              ; =>This Inner Loop Header: Depth=1
	s_ff1_i32_b64 s5, s[2:3]
	v_readlane_b32 s10, v4, s5
	s_lshl_b64 s[8:9], 1, s5
	s_min_i32 s4, s4, s10
	s_andn2_b64 s[2:3], s[2:3], s[8:9]
	s_cmp_lg_u64 s[2:3], 0
	s_cbranch_scc1 .LBB32_49
; %bb.50:
	v_mbcnt_lo_u32_b32 v0, exec_lo, 0
	v_mbcnt_hi_u32_b32 v0, exec_hi, v0
	v_cmp_eq_u32_e32 vcc, 0, v0
	s_and_saveexec_b64 s[2:3], vcc
	s_xor_b64 s[2:3], exec, s[2:3]
	s_cbranch_execz .LBB32_52
; %bb.51:
	v_mov_b32_e32 v0, 0
	v_mov_b32_e32 v1, s4
	global_atomic_smin v0, v1, s[16:17]
.LBB32_52:
	s_or_b64 exec, exec, s[6:7]
	s_and_b64 exec, exec, s[0:1]
	s_cbranch_execz .LBB32_54
; %bb.53:
	v_mov_b32_e32 v1, s13
	v_add_co_u32_e32 v0, vcc, s12, v2
	v_addc_co_u32_e32 v1, vcc, v1, v3, vcc
	v_mov_b32_e32 v2, 1
	s_waitcnt vmcnt(0)
	global_store_dword v[0:1], v2, off
.LBB32_54:
	s_endpgm
	.section	.rodata,"a",@progbits
	.p2align	6, 0x0
	.amdhsa_kernel _ZN9rocsparseL23csric0_binsearch_kernelILj256ELj32ELb0E21rocsparse_complex_numIfEEEviPKiS4_PT2_S4_PiS4_S7_S7_d21rocsparse_index_base_
		.amdhsa_group_segment_fixed_size 0
		.amdhsa_private_segment_fixed_size 0
		.amdhsa_kernarg_size 84
		.amdhsa_user_sgpr_count 6
		.amdhsa_user_sgpr_private_segment_buffer 1
		.amdhsa_user_sgpr_dispatch_ptr 0
		.amdhsa_user_sgpr_queue_ptr 0
		.amdhsa_user_sgpr_kernarg_segment_ptr 1
		.amdhsa_user_sgpr_dispatch_id 0
		.amdhsa_user_sgpr_flat_scratch_init 0
		.amdhsa_user_sgpr_kernarg_preload_length 0
		.amdhsa_user_sgpr_kernarg_preload_offset 0
		.amdhsa_user_sgpr_private_segment_size 0
		.amdhsa_uses_dynamic_stack 0
		.amdhsa_system_sgpr_private_segment_wavefront_offset 0
		.amdhsa_system_sgpr_workgroup_id_x 1
		.amdhsa_system_sgpr_workgroup_id_y 0
		.amdhsa_system_sgpr_workgroup_id_z 0
		.amdhsa_system_sgpr_workgroup_info 0
		.amdhsa_system_vgpr_workitem_id 0
		.amdhsa_next_free_vgpr 40
		.amdhsa_next_free_sgpr 38
		.amdhsa_accum_offset 40
		.amdhsa_reserve_vcc 1
		.amdhsa_reserve_flat_scratch 0
		.amdhsa_float_round_mode_32 0
		.amdhsa_float_round_mode_16_64 0
		.amdhsa_float_denorm_mode_32 3
		.amdhsa_float_denorm_mode_16_64 3
		.amdhsa_dx10_clamp 1
		.amdhsa_ieee_mode 1
		.amdhsa_fp16_overflow 0
		.amdhsa_tg_split 0
		.amdhsa_exception_fp_ieee_invalid_op 0
		.amdhsa_exception_fp_denorm_src 0
		.amdhsa_exception_fp_ieee_div_zero 0
		.amdhsa_exception_fp_ieee_overflow 0
		.amdhsa_exception_fp_ieee_underflow 0
		.amdhsa_exception_fp_ieee_inexact 0
		.amdhsa_exception_int_div_zero 0
	.end_amdhsa_kernel
	.section	.text._ZN9rocsparseL23csric0_binsearch_kernelILj256ELj32ELb0E21rocsparse_complex_numIfEEEviPKiS4_PT2_S4_PiS4_S7_S7_d21rocsparse_index_base_,"axG",@progbits,_ZN9rocsparseL23csric0_binsearch_kernelILj256ELj32ELb0E21rocsparse_complex_numIfEEEviPKiS4_PT2_S4_PiS4_S7_S7_d21rocsparse_index_base_,comdat
.Lfunc_end32:
	.size	_ZN9rocsparseL23csric0_binsearch_kernelILj256ELj32ELb0E21rocsparse_complex_numIfEEEviPKiS4_PT2_S4_PiS4_S7_S7_d21rocsparse_index_base_, .Lfunc_end32-_ZN9rocsparseL23csric0_binsearch_kernelILj256ELj32ELb0E21rocsparse_complex_numIfEEEviPKiS4_PT2_S4_PiS4_S7_S7_d21rocsparse_index_base_
                                        ; -- End function
	.section	.AMDGPU.csdata,"",@progbits
; Kernel info:
; codeLenInByte = 2432
; NumSgprs: 42
; NumVgprs: 40
; NumAgprs: 0
; TotalNumVgprs: 40
; ScratchSize: 0
; MemoryBound: 0
; FloatMode: 240
; IeeeMode: 1
; LDSByteSize: 0 bytes/workgroup (compile time only)
; SGPRBlocks: 5
; VGPRBlocks: 4
; NumSGPRsForWavesPerEU: 42
; NumVGPRsForWavesPerEU: 40
; AccumOffset: 40
; Occupancy: 8
; WaveLimiterHint : 1
; COMPUTE_PGM_RSRC2:SCRATCH_EN: 0
; COMPUTE_PGM_RSRC2:USER_SGPR: 6
; COMPUTE_PGM_RSRC2:TRAP_HANDLER: 0
; COMPUTE_PGM_RSRC2:TGID_X_EN: 1
; COMPUTE_PGM_RSRC2:TGID_Y_EN: 0
; COMPUTE_PGM_RSRC2:TGID_Z_EN: 0
; COMPUTE_PGM_RSRC2:TIDIG_COMP_CNT: 0
; COMPUTE_PGM_RSRC3_GFX90A:ACCUM_OFFSET: 9
; COMPUTE_PGM_RSRC3_GFX90A:TG_SPLIT: 0
	.section	.text._ZN9rocsparseL18csric0_hash_kernelILj256ELj64ELj1E21rocsparse_complex_numIfEEEviPKiS4_PT2_S4_PiS4_S7_S7_d21rocsparse_index_base_,"axG",@progbits,_ZN9rocsparseL18csric0_hash_kernelILj256ELj64ELj1E21rocsparse_complex_numIfEEEviPKiS4_PT2_S4_PiS4_S7_S7_d21rocsparse_index_base_,comdat
	.globl	_ZN9rocsparseL18csric0_hash_kernelILj256ELj64ELj1E21rocsparse_complex_numIfEEEviPKiS4_PT2_S4_PiS4_S7_S7_d21rocsparse_index_base_ ; -- Begin function _ZN9rocsparseL18csric0_hash_kernelILj256ELj64ELj1E21rocsparse_complex_numIfEEEviPKiS4_PT2_S4_PiS4_S7_S7_d21rocsparse_index_base_
	.p2align	8
	.type	_ZN9rocsparseL18csric0_hash_kernelILj256ELj64ELj1E21rocsparse_complex_numIfEEEviPKiS4_PT2_S4_PiS4_S7_S7_d21rocsparse_index_base_,@function
_ZN9rocsparseL18csric0_hash_kernelILj256ELj64ELj1E21rocsparse_complex_numIfEEEviPKiS4_PT2_S4_PiS4_S7_S7_d21rocsparse_index_base_: ; @_ZN9rocsparseL18csric0_hash_kernelILj256ELj64ELj1E21rocsparse_complex_numIfEEEviPKiS4_PT2_S4_PiS4_S7_S7_d21rocsparse_index_base_
; %bb.0:
	s_load_dword s0, s[4:5], 0x0
	s_lshl_b32 s1, s6, 2
	v_and_b32_e32 v5, 63, v0
	v_and_b32_e32 v6, 0xc0, v0
	v_mov_b32_e32 v1, 0x400
	v_lshrrev_b32_e32 v0, 6, v0
	s_and_b32 s1, s1, 0x3fffffc
	v_lshl_or_b32 v22, v6, 2, v1
	v_or_b32_e32 v0, s1, v0
	v_lshl_or_b32 v1, v5, 2, v22
	v_mov_b32_e32 v2, -1
	s_waitcnt lgkmcnt(0)
	v_cmp_gt_i32_e32 vcc, s0, v0
	ds_write_b32 v1, v2
	s_waitcnt lgkmcnt(0)
	s_and_saveexec_b64 s[0:1], vcc
	s_cbranch_execz .LBB33_52
; %bb.1:
	s_load_dwordx8 s[8:15], s[4:5], 0x28
	v_lshlrev_b32_e32 v0, 2, v0
	s_load_dwordx8 s[16:23], s[4:5], 0x8
	s_load_dword s33, s[4:5], 0x50
	s_waitcnt lgkmcnt(0)
	global_load_dword v2, v0, s[10:11]
	v_mov_b32_e32 v7, s17
	v_mov_b32_e32 v4, s23
	s_waitcnt vmcnt(0)
	v_ashrrev_i32_e32 v3, 31, v2
	v_lshlrev_b64 v[0:1], 2, v[2:3]
	v_add_co_u32_e32 v8, vcc, s16, v0
	v_addc_co_u32_e32 v9, vcc, v7, v1, vcc
	global_load_dwordx2 v[8:9], v[8:9], off
	v_add_co_u32_e32 v10, vcc, s22, v0
	v_addc_co_u32_e32 v11, vcc, v4, v1, vcc
	global_load_dword v4, v[10:11], off
	v_lshlrev_b32_e32 v3, 2, v6
	s_waitcnt vmcnt(1)
	v_subrev_u32_e32 v6, s33, v8
	v_subrev_u32_e32 v7, s33, v9
	v_add_u32_e32 v8, v6, v5
	v_cmp_lt_i32_e32 vcc, v8, v7
	s_and_saveexec_b64 s[0:1], vcc
	s_cbranch_execz .LBB33_11
; %bb.2:
	s_mov_b64 s[2:3], 0
	v_mov_b32_e32 v10, s19
	v_mov_b32_e32 v11, -1
	s_branch .LBB33_4
.LBB33_3:                               ;   in Loop: Header=BB33_4 Depth=1
	s_or_b64 exec, exec, s[6:7]
	v_add_u32_e32 v8, 64, v8
	v_cmp_ge_i32_e32 vcc, v8, v7
	s_or_b64 s[2:3], vcc, s[2:3]
	s_andn2_b64 exec, exec, s[2:3]
	s_cbranch_execz .LBB33_11
.LBB33_4:                               ; =>This Loop Header: Depth=1
                                        ;     Child Loop BB33_7 Depth 2
	v_ashrrev_i32_e32 v9, 31, v8
	v_lshlrev_b64 v[12:13], 2, v[8:9]
	v_add_co_u32_e32 v12, vcc, s18, v12
	v_addc_co_u32_e32 v13, vcc, v10, v13, vcc
	global_load_dword v9, v[12:13], off
	s_waitcnt vmcnt(0)
	v_mul_lo_u32 v12, v9, 39
	v_and_b32_e32 v12, 63, v12
	v_lshl_add_u32 v13, v12, 2, v22
	ds_read_b32 v14, v13
	s_waitcnt lgkmcnt(0)
	v_cmp_ne_u32_e32 vcc, v14, v9
	s_and_saveexec_b64 s[6:7], vcc
	s_cbranch_execz .LBB33_3
; %bb.5:                                ;   in Loop: Header=BB33_4 Depth=1
	s_mov_b64 s[10:11], 0
                                        ; implicit-def: $sgpr24_sgpr25
                                        ; implicit-def: $sgpr28_sgpr29
                                        ; implicit-def: $sgpr26_sgpr27
	s_branch .LBB33_7
.LBB33_6:                               ;   in Loop: Header=BB33_7 Depth=2
	s_or_b64 exec, exec, s[30:31]
	s_and_b64 s[30:31], exec, s[28:29]
	s_or_b64 s[10:11], s[30:31], s[10:11]
	s_andn2_b64 s[24:25], s[24:25], exec
	s_and_b64 s[30:31], s[26:27], exec
	s_or_b64 s[24:25], s[24:25], s[30:31]
	s_andn2_b64 exec, exec, s[10:11]
	s_cbranch_execz .LBB33_9
.LBB33_7:                               ;   Parent Loop BB33_4 Depth=1
                                        ; =>  This Inner Loop Header: Depth=2
	ds_cmpst_rtn_b32 v13, v13, v11, v9
	v_mov_b32_e32 v14, v12
	s_or_b64 s[26:27], s[26:27], exec
	s_or_b64 s[28:29], s[28:29], exec
                                        ; implicit-def: $vgpr12
	s_waitcnt lgkmcnt(0)
	v_cmp_ne_u32_e32 vcc, -1, v13
                                        ; implicit-def: $vgpr13
	s_and_saveexec_b64 s[30:31], vcc
	s_cbranch_execz .LBB33_6
; %bb.8:                                ;   in Loop: Header=BB33_7 Depth=2
	v_add_u32_e32 v12, 1, v14
	v_and_b32_e32 v12, 63, v12
	v_lshl_add_u32 v13, v12, 2, v22
	ds_read_b32 v15, v13
	s_andn2_b64 s[28:29], s[28:29], exec
	s_andn2_b64 s[26:27], s[26:27], exec
	s_waitcnt lgkmcnt(0)
	v_cmp_eq_u32_e32 vcc, v15, v9
	s_and_b64 s[34:35], vcc, exec
	s_or_b64 s[28:29], s[28:29], s[34:35]
	s_branch .LBB33_6
.LBB33_9:                               ;   in Loop: Header=BB33_4 Depth=1
	s_or_b64 exec, exec, s[10:11]
	s_and_saveexec_b64 s[10:11], s[24:25]
	s_xor_b64 s[10:11], exec, s[10:11]
	s_cbranch_execz .LBB33_3
; %bb.10:                               ;   in Loop: Header=BB33_4 Depth=1
	v_lshl_add_u32 v9, v14, 2, v3
	ds_write_b32 v9, v8
	s_branch .LBB33_3
.LBB33_11:
	s_or_b64 exec, exec, s[0:1]
	v_mov_b32_e32 v9, 0
	s_waitcnt vmcnt(0)
	v_cmp_lt_i32_e32 vcc, v6, v4
	v_mov_b32_e32 v8, v9
	s_waitcnt lgkmcnt(0)
	s_and_saveexec_b64 s[6:7], vcc
	s_cbranch_execz .LBB33_33
; %bb.12:
	v_mov_b32_e32 v8, 0
	v_add_u32_e32 v23, -1, v4
	v_subrev_u32_e32 v24, s33, v5
	v_cmp_eq_u32_e64 s[0:1], 63, v5
	s_mov_b64 s[10:11], 0
	v_mov_b32_e32 v25, s19
	v_mov_b32_e32 v26, s21
	;; [unrolled: 1-line block ×6, first 2 shown]
	s_branch .LBB33_15
.LBB33_13:                              ;   in Loop: Header=BB33_15 Depth=1
	s_or_b64 exec, exec, s[24:25]
	v_add_u32_e32 v6, 1, v6
	v_cmp_ge_i32_e32 vcc, v6, v4
	s_orn2_b64 s[24:25], vcc, exec
.LBB33_14:                              ;   in Loop: Header=BB33_15 Depth=1
	s_or_b64 exec, exec, s[2:3]
	s_and_b64 s[2:3], exec, s[24:25]
	s_or_b64 s[10:11], s[2:3], s[10:11]
	s_andn2_b64 exec, exec, s[10:11]
	s_cbranch_execz .LBB33_32
.LBB33_15:                              ; =>This Loop Header: Depth=1
                                        ;     Child Loop BB33_16 Depth 2
                                        ;     Child Loop BB33_22 Depth 2
                                        ;       Child Loop BB33_25 Depth 3
	v_ashrrev_i32_e32 v7, 31, v6
	v_lshlrev_b64 v[10:11], 2, v[6:7]
	v_add_co_u32_e32 v10, vcc, s18, v10
	v_addc_co_u32_e32 v11, vcc, v25, v11, vcc
	global_load_dword v14, v[10:11], off
	v_lshlrev_b64 v[10:11], 3, v[6:7]
	v_add_co_u32_e32 v10, vcc, s20, v10
	v_addc_co_u32_e32 v11, vcc, v26, v11, vcc
	global_load_dwordx2 v[12:13], v[10:11], off
	s_mov_b64 s[2:3], 0
	s_waitcnt vmcnt(1)
	v_subrev_u32_e32 v14, s33, v14
	v_ashrrev_i32_e32 v15, 31, v14
	v_lshlrev_b64 v[14:15], 2, v[14:15]
	v_add_co_u32_e32 v18, vcc, s16, v14
	v_addc_co_u32_e32 v19, vcc, v27, v15, vcc
	v_add_co_u32_e32 v20, vcc, s22, v14
	v_addc_co_u32_e32 v21, vcc, v28, v15, vcc
	global_load_dword v7, v[18:19], off
	global_load_dword v16, v[20:21], off
	v_add_co_u32_e32 v14, vcc, s8, v14
	v_addc_co_u32_e32 v15, vcc, v29, v15, vcc
.LBB33_16:                              ;   Parent Loop BB33_15 Depth=1
                                        ; =>  This Inner Loop Header: Depth=2
	global_load_dword v17, v[14:15], off glc
	s_waitcnt vmcnt(0)
	v_cmp_ne_u32_e32 vcc, 0, v17
	s_or_b64 s[2:3], vcc, s[2:3]
	s_andn2_b64 exec, exec, s[2:3]
	s_cbranch_execnz .LBB33_16
; %bb.17:                               ;   in Loop: Header=BB33_15 Depth=1
	s_or_b64 exec, exec, s[2:3]
	v_cmp_eq_u32_e32 vcc, -1, v16
	v_cndmask_b32_e32 v16, v16, v23, vcc
	v_ashrrev_i32_e32 v17, 31, v16
	v_lshlrev_b64 v[14:15], 3, v[16:17]
	v_add_co_u32_e32 v14, vcc, s20, v14
	v_addc_co_u32_e32 v15, vcc, v26, v15, vcc
	buffer_wbinvl1_vol
	global_load_dwordx2 v[14:15], v[14:15], off
	s_mov_b64 s[24:25], -1
	s_waitcnt vmcnt(0)
	v_cmp_neq_f32_e32 vcc, 0, v14
	v_cmp_neq_f32_e64 s[2:3], 0, v15
	s_or_b64 s[26:27], vcc, s[2:3]
	s_and_saveexec_b64 s[2:3], s[26:27]
	s_cbranch_execz .LBB33_14
; %bb.18:                               ;   in Loop: Header=BB33_15 Depth=1
	v_add_u32_e32 v20, v24, v7
	v_mov_b32_e32 v19, 0
	v_cmp_lt_i32_e32 vcc, v20, v16
	v_mov_b32_e32 v18, v19
	s_and_saveexec_b64 s[24:25], vcc
	s_cbranch_execz .LBB33_30
; %bb.19:                               ;   in Loop: Header=BB33_15 Depth=1
	v_mov_b32_e32 v18, 0
	s_mov_b64 s[26:27], 0
	v_mov_b32_e32 v19, v18
	s_branch .LBB33_22
.LBB33_20:                              ;   in Loop: Header=BB33_22 Depth=2
	s_or_b64 exec, exec, s[30:31]
.LBB33_21:                              ;   in Loop: Header=BB33_22 Depth=2
	s_or_b64 exec, exec, s[28:29]
	v_add_u32_e32 v20, 64, v20
	v_cmp_ge_i32_e32 vcc, v20, v16
	s_or_b64 s[26:27], vcc, s[26:27]
	s_andn2_b64 exec, exec, s[26:27]
	s_cbranch_execz .LBB33_29
.LBB33_22:                              ;   Parent Loop BB33_15 Depth=1
                                        ; =>  This Loop Header: Depth=2
                                        ;       Child Loop BB33_25 Depth 3
	v_ashrrev_i32_e32 v21, 31, v20
	v_lshlrev_b64 v[30:31], 2, v[20:21]
	v_add_co_u32_e32 v30, vcc, s18, v30
	v_addc_co_u32_e32 v31, vcc, v25, v31, vcc
	global_load_dword v7, v[30:31], off
	s_waitcnt vmcnt(0)
	v_mul_lo_u32 v17, v7, 39
	v_and_b32_e32 v31, 63, v17
	v_lshl_add_u32 v17, v31, 2, v22
	ds_read_b32 v30, v17
	s_waitcnt lgkmcnt(0)
	v_cmp_ne_u32_e32 vcc, -1, v30
	s_and_saveexec_b64 s[28:29], vcc
	s_cbranch_execz .LBB33_21
; %bb.23:                               ;   in Loop: Header=BB33_22 Depth=2
	s_mov_b64 s[34:35], 0
                                        ; implicit-def: $sgpr30_sgpr31
                                        ; implicit-def: $sgpr38_sgpr39
                                        ; implicit-def: $sgpr36_sgpr37
	s_branch .LBB33_25
.LBB33_24:                              ;   in Loop: Header=BB33_25 Depth=3
	s_or_b64 exec, exec, s[40:41]
	s_and_b64 s[40:41], exec, s[38:39]
	s_or_b64 s[34:35], s[40:41], s[34:35]
	s_andn2_b64 s[30:31], s[30:31], exec
	s_and_b64 s[40:41], s[36:37], exec
	s_or_b64 s[30:31], s[30:31], s[40:41]
	s_andn2_b64 exec, exec, s[34:35]
	s_cbranch_execz .LBB33_27
.LBB33_25:                              ;   Parent Loop BB33_15 Depth=1
                                        ;     Parent Loop BB33_22 Depth=2
                                        ; =>    This Inner Loop Header: Depth=3
	v_mov_b32_e32 v17, v31
	v_cmp_ne_u32_e32 vcc, v30, v7
	s_or_b64 s[36:37], s[36:37], exec
	s_or_b64 s[38:39], s[38:39], exec
                                        ; implicit-def: $vgpr31
                                        ; implicit-def: $vgpr30
	s_and_saveexec_b64 s[40:41], vcc
	s_cbranch_execz .LBB33_24
; %bb.26:                               ;   in Loop: Header=BB33_25 Depth=3
	v_add_u32_e32 v30, 1, v17
	v_and_b32_e32 v31, 63, v30
	v_lshl_add_u32 v30, v31, 2, v22
	ds_read_b32 v30, v30
	s_andn2_b64 s[38:39], s[38:39], exec
	s_andn2_b64 s[36:37], s[36:37], exec
	s_waitcnt lgkmcnt(0)
	v_cmp_eq_u32_e32 vcc, -1, v30
	s_and_b64 s[42:43], vcc, exec
	s_or_b64 s[38:39], s[38:39], s[42:43]
	s_branch .LBB33_24
.LBB33_27:                              ;   in Loop: Header=BB33_22 Depth=2
	s_or_b64 exec, exec, s[34:35]
	s_and_saveexec_b64 s[34:35], s[30:31]
	s_xor_b64 s[30:31], exec, s[34:35]
	s_cbranch_execz .LBB33_20
; %bb.28:                               ;   in Loop: Header=BB33_22 Depth=2
	v_lshl_add_u32 v7, v17, 2, v3
	ds_read_b32 v30, v7
	v_lshlrev_b64 v[32:33], 3, v[20:21]
	v_mov_b32_e32 v7, s21
	v_add_co_u32_e32 v32, vcc, s20, v32
	s_waitcnt lgkmcnt(0)
	v_ashrrev_i32_e32 v31, 31, v30
	v_addc_co_u32_e32 v33, vcc, v7, v33, vcc
	v_lshlrev_b64 v[30:31], 3, v[30:31]
	v_add_co_u32_e32 v30, vcc, s20, v30
	v_addc_co_u32_e32 v31, vcc, v7, v31, vcc
	global_load_dwordx2 v[34:35], v[30:31], off
	global_load_dwordx2 v[36:37], v[32:33], off
	s_waitcnt vmcnt(0)
	v_pk_fma_f32 v[18:19], v[36:37], v[34:35], v[18:19] op_sel:[1,0,0] op_sel_hi:[0,0,1]
	v_pk_fma_f32 v[18:19], v[36:37], v[34:35], v[18:19] op_sel:[0,1,0] neg_lo:[0,1,0]
	s_branch .LBB33_20
.LBB33_29:                              ;   in Loop: Header=BB33_15 Depth=1
	s_or_b64 exec, exec, s[26:27]
.LBB33_30:                              ;   in Loop: Header=BB33_15 Depth=1
	s_or_b64 exec, exec, s[24:25]
	v_mov_b32_e32 v16, v19
	v_mov_b32_e32 v17, v18
	v_mov_b32_dpp v20, v19 row_shr:1 row_mask:0xf bank_mask:0xf
	v_mov_b32_dpp v21, v18 row_shr:1 row_mask:0xf bank_mask:0xf
	v_pk_add_f32 v[16:17], v[16:17], v[20:21]
	s_nop 1
	v_mov_b32_dpp v18, v16 row_shr:2 row_mask:0xf bank_mask:0xf
	v_mov_b32_dpp v19, v17 row_shr:2 row_mask:0xf bank_mask:0xf
	v_pk_add_f32 v[16:17], v[16:17], v[18:19]
	s_nop 1
	v_mov_b32_dpp v18, v16 row_shr:4 row_mask:0xf bank_mask:0xe
	v_mov_b32_dpp v19, v17 row_shr:4 row_mask:0xf bank_mask:0xe
	v_pk_add_f32 v[16:17], v[16:17], v[18:19]
	s_nop 1
	v_mov_b32_dpp v18, v16 row_shr:8 row_mask:0xf bank_mask:0xc
	v_mov_b32_dpp v19, v17 row_shr:8 row_mask:0xf bank_mask:0xc
	v_pk_add_f32 v[16:17], v[16:17], v[18:19]
	s_nop 1
	v_mov_b32_dpp v18, v16 row_bcast:15 row_mask:0xa bank_mask:0xf
	v_mov_b32_dpp v19, v17 row_bcast:15 row_mask:0xa bank_mask:0xf
	v_pk_add_f32 v[16:17], v[16:17], v[18:19]
	s_nop 1
	v_mov_b32_dpp v18, v16 row_bcast:31 row_mask:0xc bank_mask:0xf
	v_mov_b32_dpp v19, v17 row_bcast:31 row_mask:0xc bank_mask:0xf
	s_and_saveexec_b64 s[24:25], s[0:1]
	s_cbranch_execz .LBB33_13
; %bb.31:                               ;   in Loop: Header=BB33_15 Depth=1
	v_mul_f32_e32 v7, v15, v15
	v_fmac_f32_e32 v7, v14, v14
	v_div_scale_f32 v20, s[26:27], v7, v7, 1.0
	v_rcp_f32_e32 v21, v20
	v_div_scale_f32 v30, vcc, 1.0, v7, 1.0
	v_pk_add_f32 v[16:17], v[16:17], v[18:19]
	v_fma_f32 v31, -v20, v21, 1.0
	v_fmac_f32_e32 v21, v31, v21
	v_mul_f32_e32 v31, v30, v21
	v_fma_f32 v32, -v20, v31, v30
	v_fmac_f32_e32 v31, v32, v21
	v_fma_f32 v20, -v20, v31, v30
	v_div_fmas_f32 v20, v20, v21, v31
	v_div_fixup_f32 v7, v20, v7, 1.0
	v_fma_f32 v20, 0, v15, v14
	v_fma_f32 v14, v14, 0, -v15
	v_mul_f32_e32 v14, v14, v7
	v_pk_add_f32 v[12:13], v[12:13], v[16:17] neg_lo:[0,1] neg_hi:[0,1]
	v_mul_f32_e32 v20, v20, v7
	v_pk_mul_f32 v[14:15], v[14:15], v[12:13] op_sel:[0,1] op_sel_hi:[0,0] neg_lo:[0,1]
	v_pk_fma_f32 v[12:13], v[12:13], v[20:21], v[14:15] op_sel_hi:[1,0,1]
	v_xor_b32_e32 v14, 0x80000000, v13
	v_pk_fma_f32 v[8:9], v[12:13], v[12:13], v[8:9] op_sel:[1,0,0] op_sel_hi:[0,0,1]
	v_mov_b32_e32 v15, v13
	v_pk_fma_f32 v[8:9], v[12:13], v[14:15], v[8:9]
	global_store_dwordx2 v[10:11], v[12:13], off
	s_branch .LBB33_13
.LBB33_32:
	s_or_b64 exec, exec, s[10:11]
.LBB33_33:
	s_or_b64 exec, exec, s[6:7]
	v_cmp_eq_u32_e64 s[0:1], 63, v5
	v_cmp_lt_i32_e32 vcc, -1, v4
	s_and_b64 s[2:3], s[0:1], vcc
	s_and_saveexec_b64 s[6:7], s[2:3]
	s_cbranch_execz .LBB33_50
; %bb.34:
	v_mov_b32_e32 v5, 0
	v_lshlrev_b64 v[4:5], 3, v[4:5]
	v_mov_b32_e32 v3, s21
	v_add_co_u32_e32 v4, vcc, s20, v4
	v_addc_co_u32_e32 v5, vcc, v3, v5, vcc
	global_load_dwordx2 v[6:7], v[4:5], off
	s_load_dwordx2 s[2:3], s[4:5], 0x48
	v_add_u32_e32 v2, s33, v2
	s_waitcnt lgkmcnt(0)
	v_mul_f64 v[10:11], s[2:3], s[2:3]
	s_waitcnt vmcnt(0)
	v_pk_add_f32 v[6:7], v[6:7], v[8:9] op_sel:[1,0] op_sel_hi:[0,1] neg_lo:[0,1] neg_hi:[0,1]
	v_cvt_f64_f32_e32 v[8:9], v7
	v_cmp_eq_f32_e32 vcc, 0, v6
	v_cmp_ge_f64_e64 s[2:3], v[10:11], v[8:9]
	s_and_b64 s[4:5], s[2:3], vcc
	s_and_saveexec_b64 s[2:3], s[4:5]
	s_cbranch_execz .LBB33_39
; %bb.35:
	s_mov_b64 s[4:5], exec
	s_brev_b32 s10, -2
.LBB33_36:                              ; =>This Inner Loop Header: Depth=1
	s_ff1_i32_b64 s11, s[4:5]
	v_readlane_b32 s18, v2, s11
	s_lshl_b64 s[16:17], 1, s11
	s_min_i32 s10, s10, s18
	s_andn2_b64 s[4:5], s[4:5], s[16:17]
	s_cmp_lg_u64 s[4:5], 0
	s_cbranch_scc1 .LBB33_36
; %bb.37:
	v_mbcnt_lo_u32_b32 v3, exec_lo, 0
	v_mbcnt_hi_u32_b32 v3, exec_hi, v3
	v_cmp_eq_u32_e32 vcc, 0, v3
	s_and_saveexec_b64 s[4:5], vcc
	s_xor_b64 s[4:5], exec, s[4:5]
	s_cbranch_execz .LBB33_39
; %bb.38:
	v_mov_b32_e32 v3, 0
	v_mov_b32_e32 v8, s10
	global_atomic_smin v3, v8, s[14:15]
.LBB33_39:
	s_or_b64 exec, exec, s[2:3]
	v_cmp_gt_f32_e32 vcc, 0, v6
	v_cndmask_b32_e64 v3, v6, -v6, vcc
	v_cmp_gt_f32_e32 vcc, 0, v7
	v_cndmask_b32_e64 v7, v7, -v7, vcc
	v_cmp_ngt_f32_e32 vcc, v7, v3
                                        ; implicit-def: $vgpr8
	s_and_saveexec_b64 s[2:3], vcc
	s_xor_b64 s[4:5], exec, s[2:3]
	s_cbranch_execz .LBB33_43
; %bb.40:
	v_cmp_neq_f32_e32 vcc, 0, v6
	v_mov_b32_e32 v8, 0
	s_and_saveexec_b64 s[10:11], vcc
	s_cbranch_execz .LBB33_42
; %bb.41:
	v_div_scale_f32 v6, s[2:3], v3, v3, v7
	v_rcp_f32_e32 v8, v6
	v_div_scale_f32 v9, vcc, v7, v3, v7
	s_mov_b32 s2, 0xf800000
	v_fma_f32 v10, -v6, v8, 1.0
	v_fmac_f32_e32 v8, v10, v8
	v_mul_f32_e32 v10, v9, v8
	v_fma_f32 v11, -v6, v10, v9
	v_fmac_f32_e32 v10, v11, v8
	v_fma_f32 v6, -v6, v10, v9
	v_div_fmas_f32 v6, v6, v8, v10
	v_div_fixup_f32 v6, v6, v3, v7
	v_fma_f32 v6, v6, v6, 1.0
	v_mul_f32_e32 v7, 0x4f800000, v6
	v_cmp_gt_f32_e32 vcc, s2, v6
	v_cndmask_b32_e32 v6, v6, v7, vcc
	v_sqrt_f32_e32 v7, v6
	v_add_u32_e32 v8, -1, v7
	v_fma_f32 v9, -v8, v7, v6
	v_cmp_ge_f32_e64 s[2:3], 0, v9
	v_add_u32_e32 v9, 1, v7
	v_cndmask_b32_e64 v8, v7, v8, s[2:3]
	v_fma_f32 v7, -v9, v7, v6
	v_cmp_lt_f32_e64 s[2:3], 0, v7
	v_cndmask_b32_e64 v7, v8, v9, s[2:3]
	v_mul_f32_e32 v8, 0x37800000, v7
	v_cndmask_b32_e32 v7, v7, v8, vcc
	v_mov_b32_e32 v8, 0x260
	v_cmp_class_f32_e32 vcc, v6, v8
	v_cndmask_b32_e32 v6, v7, v6, vcc
	v_mul_f32_e32 v8, v3, v6
.LBB33_42:
	s_or_b64 exec, exec, s[10:11]
                                        ; implicit-def: $vgpr7
                                        ; implicit-def: $vgpr3
.LBB33_43:
	s_andn2_saveexec_b64 s[4:5], s[4:5]
	s_cbranch_execz .LBB33_45
; %bb.44:
	v_div_scale_f32 v6, s[2:3], v7, v7, v3
	v_rcp_f32_e32 v8, v6
	v_div_scale_f32 v9, vcc, v3, v7, v3
	s_mov_b32 s2, 0xf800000
	v_fma_f32 v10, -v6, v8, 1.0
	v_fmac_f32_e32 v8, v10, v8
	v_mul_f32_e32 v10, v9, v8
	v_fma_f32 v11, -v6, v10, v9
	v_fmac_f32_e32 v10, v11, v8
	v_fma_f32 v6, -v6, v10, v9
	v_div_fmas_f32 v6, v6, v8, v10
	v_div_fixup_f32 v3, v6, v7, v3
	v_fma_f32 v3, v3, v3, 1.0
	v_mul_f32_e32 v6, 0x4f800000, v3
	v_cmp_gt_f32_e32 vcc, s2, v3
	v_cndmask_b32_e32 v3, v3, v6, vcc
	v_sqrt_f32_e32 v6, v3
	v_add_u32_e32 v8, -1, v6
	v_fma_f32 v9, -v8, v6, v3
	v_cmp_ge_f32_e64 s[2:3], 0, v9
	v_add_u32_e32 v9, 1, v6
	v_cndmask_b32_e64 v8, v6, v8, s[2:3]
	v_fma_f32 v6, -v9, v6, v3
	v_cmp_lt_f32_e64 s[2:3], 0, v6
	v_cndmask_b32_e64 v6, v8, v9, s[2:3]
	v_mul_f32_e32 v8, 0x37800000, v6
	v_cndmask_b32_e32 v6, v6, v8, vcc
	v_mov_b32_e32 v8, 0x260
	v_cmp_class_f32_e32 vcc, v3, v8
	v_cndmask_b32_e32 v3, v6, v3, vcc
	v_mul_f32_e32 v8, v7, v3
.LBB33_45:
	s_or_b64 exec, exec, s[4:5]
	s_mov_b32 s2, 0xf800000
	v_mul_f32_e32 v3, 0x4f800000, v8
	v_cmp_gt_f32_e32 vcc, s2, v8
	v_cndmask_b32_e32 v3, v8, v3, vcc
	v_sqrt_f32_e32 v6, v3
	v_add_u32_e32 v7, -1, v6
	v_fma_f32 v8, -v7, v6, v3
	v_cmp_ge_f32_e64 s[2:3], 0, v8
	v_add_u32_e32 v8, 1, v6
	v_cndmask_b32_e64 v7, v6, v7, s[2:3]
	v_fma_f32 v6, -v8, v6, v3
	v_cmp_lt_f32_e64 s[2:3], 0, v6
	v_cndmask_b32_e64 v6, v7, v8, s[2:3]
	v_mul_f32_e32 v7, 0x37800000, v6
	v_cndmask_b32_e32 v6, v6, v7, vcc
	v_mov_b32_e32 v7, 0x260
	v_cmp_class_f32_e32 vcc, v3, v7
	v_cndmask_b32_e32 v6, v6, v3, vcc
	v_mov_b32_e32 v7, 0
	v_cmp_eq_f32_e32 vcc, 0, v6
	global_store_dwordx2 v[4:5], v[6:7], off
	s_and_b64 exec, exec, vcc
	s_cbranch_execz .LBB33_50
; %bb.46:
	s_mov_b64 s[2:3], exec
	s_brev_b32 s4, -2
.LBB33_47:                              ; =>This Inner Loop Header: Depth=1
	s_ff1_i32_b64 s5, s[2:3]
	v_readlane_b32 s14, v2, s5
	s_lshl_b64 s[10:11], 1, s5
	s_min_i32 s4, s4, s14
	s_andn2_b64 s[2:3], s[2:3], s[10:11]
	s_cmp_lg_u64 s[2:3], 0
	s_cbranch_scc1 .LBB33_47
; %bb.48:
	v_mbcnt_lo_u32_b32 v2, exec_lo, 0
	v_mbcnt_hi_u32_b32 v2, exec_hi, v2
	v_cmp_eq_u32_e32 vcc, 0, v2
	s_and_saveexec_b64 s[2:3], vcc
	s_xor_b64 s[2:3], exec, s[2:3]
	s_cbranch_execz .LBB33_50
; %bb.49:
	v_mov_b32_e32 v2, 0
	v_mov_b32_e32 v3, s4
	global_atomic_smin v2, v3, s[12:13]
.LBB33_50:
	s_or_b64 exec, exec, s[6:7]
	s_and_b64 exec, exec, s[0:1]
	s_cbranch_execz .LBB33_52
; %bb.51:
	v_mov_b32_e32 v2, s9
	v_add_co_u32_e32 v0, vcc, s8, v0
	v_addc_co_u32_e32 v1, vcc, v2, v1, vcc
	v_mov_b32_e32 v2, 1
	s_waitcnt vmcnt(0)
	global_store_dword v[0:1], v2, off
.LBB33_52:
	s_endpgm
	.section	.rodata,"a",@progbits
	.p2align	6, 0x0
	.amdhsa_kernel _ZN9rocsparseL18csric0_hash_kernelILj256ELj64ELj1E21rocsparse_complex_numIfEEEviPKiS4_PT2_S4_PiS4_S7_S7_d21rocsparse_index_base_
		.amdhsa_group_segment_fixed_size 2048
		.amdhsa_private_segment_fixed_size 0
		.amdhsa_kernarg_size 84
		.amdhsa_user_sgpr_count 6
		.amdhsa_user_sgpr_private_segment_buffer 1
		.amdhsa_user_sgpr_dispatch_ptr 0
		.amdhsa_user_sgpr_queue_ptr 0
		.amdhsa_user_sgpr_kernarg_segment_ptr 1
		.amdhsa_user_sgpr_dispatch_id 0
		.amdhsa_user_sgpr_flat_scratch_init 0
		.amdhsa_user_sgpr_kernarg_preload_length 0
		.amdhsa_user_sgpr_kernarg_preload_offset 0
		.amdhsa_user_sgpr_private_segment_size 0
		.amdhsa_uses_dynamic_stack 0
		.amdhsa_system_sgpr_private_segment_wavefront_offset 0
		.amdhsa_system_sgpr_workgroup_id_x 1
		.amdhsa_system_sgpr_workgroup_id_y 0
		.amdhsa_system_sgpr_workgroup_id_z 0
		.amdhsa_system_sgpr_workgroup_info 0
		.amdhsa_system_vgpr_workitem_id 0
		.amdhsa_next_free_vgpr 38
		.amdhsa_next_free_sgpr 44
		.amdhsa_accum_offset 40
		.amdhsa_reserve_vcc 1
		.amdhsa_reserve_flat_scratch 0
		.amdhsa_float_round_mode_32 0
		.amdhsa_float_round_mode_16_64 0
		.amdhsa_float_denorm_mode_32 3
		.amdhsa_float_denorm_mode_16_64 3
		.amdhsa_dx10_clamp 1
		.amdhsa_ieee_mode 1
		.amdhsa_fp16_overflow 0
		.amdhsa_tg_split 0
		.amdhsa_exception_fp_ieee_invalid_op 0
		.amdhsa_exception_fp_denorm_src 0
		.amdhsa_exception_fp_ieee_div_zero 0
		.amdhsa_exception_fp_ieee_overflow 0
		.amdhsa_exception_fp_ieee_underflow 0
		.amdhsa_exception_fp_ieee_inexact 0
		.amdhsa_exception_int_div_zero 0
	.end_amdhsa_kernel
	.section	.text._ZN9rocsparseL18csric0_hash_kernelILj256ELj64ELj1E21rocsparse_complex_numIfEEEviPKiS4_PT2_S4_PiS4_S7_S7_d21rocsparse_index_base_,"axG",@progbits,_ZN9rocsparseL18csric0_hash_kernelILj256ELj64ELj1E21rocsparse_complex_numIfEEEviPKiS4_PT2_S4_PiS4_S7_S7_d21rocsparse_index_base_,comdat
.Lfunc_end33:
	.size	_ZN9rocsparseL18csric0_hash_kernelILj256ELj64ELj1E21rocsparse_complex_numIfEEEviPKiS4_PT2_S4_PiS4_S7_S7_d21rocsparse_index_base_, .Lfunc_end33-_ZN9rocsparseL18csric0_hash_kernelILj256ELj64ELj1E21rocsparse_complex_numIfEEEviPKiS4_PT2_S4_PiS4_S7_S7_d21rocsparse_index_base_
                                        ; -- End function
	.section	.AMDGPU.csdata,"",@progbits
; Kernel info:
; codeLenInByte = 2532
; NumSgprs: 48
; NumVgprs: 38
; NumAgprs: 0
; TotalNumVgprs: 38
; ScratchSize: 0
; MemoryBound: 0
; FloatMode: 240
; IeeeMode: 1
; LDSByteSize: 2048 bytes/workgroup (compile time only)
; SGPRBlocks: 5
; VGPRBlocks: 4
; NumSGPRsForWavesPerEU: 48
; NumVGPRsForWavesPerEU: 38
; AccumOffset: 40
; Occupancy: 8
; WaveLimiterHint : 1
; COMPUTE_PGM_RSRC2:SCRATCH_EN: 0
; COMPUTE_PGM_RSRC2:USER_SGPR: 6
; COMPUTE_PGM_RSRC2:TRAP_HANDLER: 0
; COMPUTE_PGM_RSRC2:TGID_X_EN: 1
; COMPUTE_PGM_RSRC2:TGID_Y_EN: 0
; COMPUTE_PGM_RSRC2:TGID_Z_EN: 0
; COMPUTE_PGM_RSRC2:TIDIG_COMP_CNT: 0
; COMPUTE_PGM_RSRC3_GFX90A:ACCUM_OFFSET: 9
; COMPUTE_PGM_RSRC3_GFX90A:TG_SPLIT: 0
	.section	.text._ZN9rocsparseL18csric0_hash_kernelILj256ELj64ELj2E21rocsparse_complex_numIfEEEviPKiS4_PT2_S4_PiS4_S7_S7_d21rocsparse_index_base_,"axG",@progbits,_ZN9rocsparseL18csric0_hash_kernelILj256ELj64ELj2E21rocsparse_complex_numIfEEEviPKiS4_PT2_S4_PiS4_S7_S7_d21rocsparse_index_base_,comdat
	.globl	_ZN9rocsparseL18csric0_hash_kernelILj256ELj64ELj2E21rocsparse_complex_numIfEEEviPKiS4_PT2_S4_PiS4_S7_S7_d21rocsparse_index_base_ ; -- Begin function _ZN9rocsparseL18csric0_hash_kernelILj256ELj64ELj2E21rocsparse_complex_numIfEEEviPKiS4_PT2_S4_PiS4_S7_S7_d21rocsparse_index_base_
	.p2align	8
	.type	_ZN9rocsparseL18csric0_hash_kernelILj256ELj64ELj2E21rocsparse_complex_numIfEEEviPKiS4_PT2_S4_PiS4_S7_S7_d21rocsparse_index_base_,@function
_ZN9rocsparseL18csric0_hash_kernelILj256ELj64ELj2E21rocsparse_complex_numIfEEEviPKiS4_PT2_S4_PiS4_S7_S7_d21rocsparse_index_base_: ; @_ZN9rocsparseL18csric0_hash_kernelILj256ELj64ELj2E21rocsparse_complex_numIfEEEviPKiS4_PT2_S4_PiS4_S7_S7_d21rocsparse_index_base_
; %bb.0:
	s_load_dword s0, s[4:5], 0x0
	v_lshlrev_b32_e32 v1, 1, v0
	s_lshl_b32 s1, s6, 2
	v_and_b32_e32 v5, 63, v0
	v_and_b32_e32 v6, 0x180, v1
	v_mov_b32_e32 v1, 0x800
	v_lshrrev_b32_e32 v0, 6, v0
	s_and_b32 s1, s1, 0x3fffffc
	v_lshl_or_b32 v22, v6, 2, v1
	v_or_b32_e32 v0, s1, v0
	v_lshl_or_b32 v1, v5, 2, v22
	v_mov_b32_e32 v2, -1
	s_waitcnt lgkmcnt(0)
	v_cmp_gt_i32_e32 vcc, s0, v0
	ds_write2st64_b32 v1, v2, v2 offset1:1
	s_waitcnt lgkmcnt(0)
	s_and_saveexec_b64 s[0:1], vcc
	s_cbranch_execz .LBB34_52
; %bb.1:
	s_load_dwordx8 s[8:15], s[4:5], 0x28
	v_lshlrev_b32_e32 v0, 2, v0
	s_load_dwordx8 s[16:23], s[4:5], 0x8
	s_load_dword s33, s[4:5], 0x50
	s_waitcnt lgkmcnt(0)
	global_load_dword v2, v0, s[10:11]
	v_mov_b32_e32 v7, s17
	v_mov_b32_e32 v4, s23
	s_waitcnt vmcnt(0)
	v_ashrrev_i32_e32 v3, 31, v2
	v_lshlrev_b64 v[0:1], 2, v[2:3]
	v_add_co_u32_e32 v8, vcc, s16, v0
	v_addc_co_u32_e32 v9, vcc, v7, v1, vcc
	global_load_dwordx2 v[8:9], v[8:9], off
	v_add_co_u32_e32 v10, vcc, s22, v0
	v_addc_co_u32_e32 v11, vcc, v4, v1, vcc
	global_load_dword v4, v[10:11], off
	v_lshlrev_b32_e32 v3, 2, v6
	s_waitcnt vmcnt(1)
	v_subrev_u32_e32 v6, s33, v8
	v_subrev_u32_e32 v7, s33, v9
	v_add_u32_e32 v8, v6, v5
	v_cmp_lt_i32_e32 vcc, v8, v7
	s_and_saveexec_b64 s[0:1], vcc
	s_cbranch_execz .LBB34_11
; %bb.2:
	s_mov_b64 s[2:3], 0
	v_mov_b32_e32 v10, s19
	s_movk_i32 s34, 0x67
	v_mov_b32_e32 v11, -1
	s_branch .LBB34_4
.LBB34_3:                               ;   in Loop: Header=BB34_4 Depth=1
	s_or_b64 exec, exec, s[6:7]
	v_add_u32_e32 v8, 64, v8
	v_cmp_ge_i32_e32 vcc, v8, v7
	s_or_b64 s[2:3], vcc, s[2:3]
	s_andn2_b64 exec, exec, s[2:3]
	s_cbranch_execz .LBB34_11
.LBB34_4:                               ; =>This Loop Header: Depth=1
                                        ;     Child Loop BB34_7 Depth 2
	v_ashrrev_i32_e32 v9, 31, v8
	v_lshlrev_b64 v[12:13], 2, v[8:9]
	v_add_co_u32_e32 v12, vcc, s18, v12
	v_addc_co_u32_e32 v13, vcc, v10, v13, vcc
	global_load_dword v9, v[12:13], off
	s_waitcnt vmcnt(0)
	v_mul_lo_u32 v12, v9, s34
	v_and_b32_e32 v12, 0x7f, v12
	v_lshl_add_u32 v13, v12, 2, v22
	ds_read_b32 v14, v13
	s_waitcnt lgkmcnt(0)
	v_cmp_ne_u32_e32 vcc, v14, v9
	s_and_saveexec_b64 s[6:7], vcc
	s_cbranch_execz .LBB34_3
; %bb.5:                                ;   in Loop: Header=BB34_4 Depth=1
	s_mov_b64 s[10:11], 0
                                        ; implicit-def: $sgpr24_sgpr25
                                        ; implicit-def: $sgpr28_sgpr29
                                        ; implicit-def: $sgpr26_sgpr27
	s_branch .LBB34_7
.LBB34_6:                               ;   in Loop: Header=BB34_7 Depth=2
	s_or_b64 exec, exec, s[30:31]
	s_and_b64 s[30:31], exec, s[28:29]
	s_or_b64 s[10:11], s[30:31], s[10:11]
	s_andn2_b64 s[24:25], s[24:25], exec
	s_and_b64 s[30:31], s[26:27], exec
	s_or_b64 s[24:25], s[24:25], s[30:31]
	s_andn2_b64 exec, exec, s[10:11]
	s_cbranch_execz .LBB34_9
.LBB34_7:                               ;   Parent Loop BB34_4 Depth=1
                                        ; =>  This Inner Loop Header: Depth=2
	ds_cmpst_rtn_b32 v13, v13, v11, v9
	v_mov_b32_e32 v14, v12
	s_or_b64 s[26:27], s[26:27], exec
	s_or_b64 s[28:29], s[28:29], exec
                                        ; implicit-def: $vgpr12
	s_waitcnt lgkmcnt(0)
	v_cmp_ne_u32_e32 vcc, -1, v13
                                        ; implicit-def: $vgpr13
	s_and_saveexec_b64 s[30:31], vcc
	s_cbranch_execz .LBB34_6
; %bb.8:                                ;   in Loop: Header=BB34_7 Depth=2
	v_add_u32_e32 v12, 1, v14
	v_and_b32_e32 v12, 0x7f, v12
	v_lshl_add_u32 v13, v12, 2, v22
	ds_read_b32 v15, v13
	s_andn2_b64 s[28:29], s[28:29], exec
	s_andn2_b64 s[26:27], s[26:27], exec
	s_waitcnt lgkmcnt(0)
	v_cmp_eq_u32_e32 vcc, v15, v9
	s_and_b64 s[36:37], vcc, exec
	s_or_b64 s[28:29], s[28:29], s[36:37]
	s_branch .LBB34_6
.LBB34_9:                               ;   in Loop: Header=BB34_4 Depth=1
	s_or_b64 exec, exec, s[10:11]
	s_and_saveexec_b64 s[10:11], s[24:25]
	s_xor_b64 s[10:11], exec, s[10:11]
	s_cbranch_execz .LBB34_3
; %bb.10:                               ;   in Loop: Header=BB34_4 Depth=1
	v_lshl_add_u32 v9, v14, 2, v3
	ds_write_b32 v9, v8
	s_branch .LBB34_3
.LBB34_11:
	s_or_b64 exec, exec, s[0:1]
	v_mov_b32_e32 v9, 0
	s_waitcnt vmcnt(0)
	v_cmp_lt_i32_e32 vcc, v6, v4
	v_mov_b32_e32 v8, v9
	s_waitcnt lgkmcnt(0)
	s_and_saveexec_b64 s[6:7], vcc
	s_cbranch_execz .LBB34_33
; %bb.12:
	v_mov_b32_e32 v8, 0
	v_add_u32_e32 v23, -1, v4
	v_subrev_u32_e32 v24, s33, v5
	v_cmp_eq_u32_e64 s[0:1], 63, v5
	s_mov_b64 s[10:11], 0
	v_mov_b32_e32 v25, s19
	v_mov_b32_e32 v26, s21
	;; [unrolled: 1-line block ×5, first 2 shown]
	s_movk_i32 s17, 0x67
	v_mov_b32_e32 v9, v8
	s_branch .LBB34_15
.LBB34_13:                              ;   in Loop: Header=BB34_15 Depth=1
	s_or_b64 exec, exec, s[24:25]
	v_add_u32_e32 v6, 1, v6
	v_cmp_ge_i32_e32 vcc, v6, v4
	s_orn2_b64 s[24:25], vcc, exec
.LBB34_14:                              ;   in Loop: Header=BB34_15 Depth=1
	s_or_b64 exec, exec, s[2:3]
	s_and_b64 s[2:3], exec, s[24:25]
	s_or_b64 s[10:11], s[2:3], s[10:11]
	s_andn2_b64 exec, exec, s[10:11]
	s_cbranch_execz .LBB34_32
.LBB34_15:                              ; =>This Loop Header: Depth=1
                                        ;     Child Loop BB34_16 Depth 2
                                        ;     Child Loop BB34_22 Depth 2
                                        ;       Child Loop BB34_25 Depth 3
	v_ashrrev_i32_e32 v7, 31, v6
	v_lshlrev_b64 v[10:11], 2, v[6:7]
	v_add_co_u32_e32 v10, vcc, s18, v10
	v_addc_co_u32_e32 v11, vcc, v25, v11, vcc
	global_load_dword v14, v[10:11], off
	v_lshlrev_b64 v[10:11], 3, v[6:7]
	v_add_co_u32_e32 v10, vcc, s20, v10
	v_addc_co_u32_e32 v11, vcc, v26, v11, vcc
	global_load_dwordx2 v[12:13], v[10:11], off
	s_mov_b64 s[2:3], 0
	s_waitcnt vmcnt(1)
	v_subrev_u32_e32 v14, s33, v14
	v_ashrrev_i32_e32 v15, 31, v14
	v_lshlrev_b64 v[14:15], 2, v[14:15]
	v_add_co_u32_e32 v18, vcc, s16, v14
	v_addc_co_u32_e32 v19, vcc, v27, v15, vcc
	v_add_co_u32_e32 v20, vcc, s22, v14
	v_addc_co_u32_e32 v21, vcc, v28, v15, vcc
	global_load_dword v7, v[18:19], off
	global_load_dword v16, v[20:21], off
	v_add_co_u32_e32 v14, vcc, s8, v14
	v_addc_co_u32_e32 v15, vcc, v29, v15, vcc
.LBB34_16:                              ;   Parent Loop BB34_15 Depth=1
                                        ; =>  This Inner Loop Header: Depth=2
	global_load_dword v17, v[14:15], off glc
	s_waitcnt vmcnt(0)
	v_cmp_ne_u32_e32 vcc, 0, v17
	s_or_b64 s[2:3], vcc, s[2:3]
	s_andn2_b64 exec, exec, s[2:3]
	s_cbranch_execnz .LBB34_16
; %bb.17:                               ;   in Loop: Header=BB34_15 Depth=1
	s_or_b64 exec, exec, s[2:3]
	v_cmp_eq_u32_e32 vcc, -1, v16
	v_cndmask_b32_e32 v16, v16, v23, vcc
	v_ashrrev_i32_e32 v17, 31, v16
	v_lshlrev_b64 v[14:15], 3, v[16:17]
	v_add_co_u32_e32 v14, vcc, s20, v14
	v_addc_co_u32_e32 v15, vcc, v26, v15, vcc
	buffer_wbinvl1_vol
	global_load_dwordx2 v[14:15], v[14:15], off
	s_mov_b64 s[24:25], -1
	s_waitcnt vmcnt(0)
	v_cmp_neq_f32_e32 vcc, 0, v14
	v_cmp_neq_f32_e64 s[2:3], 0, v15
	s_or_b64 s[26:27], vcc, s[2:3]
	s_and_saveexec_b64 s[2:3], s[26:27]
	s_cbranch_execz .LBB34_14
; %bb.18:                               ;   in Loop: Header=BB34_15 Depth=1
	v_add_u32_e32 v20, v24, v7
	v_mov_b32_e32 v19, 0
	v_cmp_lt_i32_e32 vcc, v20, v16
	v_mov_b32_e32 v18, v19
	s_and_saveexec_b64 s[24:25], vcc
	s_cbranch_execz .LBB34_30
; %bb.19:                               ;   in Loop: Header=BB34_15 Depth=1
	v_mov_b32_e32 v18, 0
	s_mov_b64 s[26:27], 0
	v_mov_b32_e32 v19, v18
	s_branch .LBB34_22
.LBB34_20:                              ;   in Loop: Header=BB34_22 Depth=2
	s_or_b64 exec, exec, s[30:31]
.LBB34_21:                              ;   in Loop: Header=BB34_22 Depth=2
	s_or_b64 exec, exec, s[28:29]
	v_add_u32_e32 v20, 64, v20
	v_cmp_ge_i32_e32 vcc, v20, v16
	s_or_b64 s[26:27], vcc, s[26:27]
	s_andn2_b64 exec, exec, s[26:27]
	s_cbranch_execz .LBB34_29
.LBB34_22:                              ;   Parent Loop BB34_15 Depth=1
                                        ; =>  This Loop Header: Depth=2
                                        ;       Child Loop BB34_25 Depth 3
	v_ashrrev_i32_e32 v21, 31, v20
	v_lshlrev_b64 v[30:31], 2, v[20:21]
	v_add_co_u32_e32 v30, vcc, s18, v30
	v_addc_co_u32_e32 v31, vcc, v25, v31, vcc
	global_load_dword v7, v[30:31], off
	s_waitcnt vmcnt(0)
	v_mul_lo_u32 v17, v7, s17
	v_and_b32_e32 v31, 0x7f, v17
	v_lshl_add_u32 v17, v31, 2, v22
	ds_read_b32 v30, v17
	s_waitcnt lgkmcnt(0)
	v_cmp_ne_u32_e32 vcc, -1, v30
	s_and_saveexec_b64 s[28:29], vcc
	s_cbranch_execz .LBB34_21
; %bb.23:                               ;   in Loop: Header=BB34_22 Depth=2
	s_mov_b64 s[34:35], 0
                                        ; implicit-def: $sgpr30_sgpr31
                                        ; implicit-def: $sgpr38_sgpr39
                                        ; implicit-def: $sgpr36_sgpr37
	s_branch .LBB34_25
.LBB34_24:                              ;   in Loop: Header=BB34_25 Depth=3
	s_or_b64 exec, exec, s[40:41]
	s_and_b64 s[40:41], exec, s[38:39]
	s_or_b64 s[34:35], s[40:41], s[34:35]
	s_andn2_b64 s[30:31], s[30:31], exec
	s_and_b64 s[40:41], s[36:37], exec
	s_or_b64 s[30:31], s[30:31], s[40:41]
	s_andn2_b64 exec, exec, s[34:35]
	s_cbranch_execz .LBB34_27
.LBB34_25:                              ;   Parent Loop BB34_15 Depth=1
                                        ;     Parent Loop BB34_22 Depth=2
                                        ; =>    This Inner Loop Header: Depth=3
	v_mov_b32_e32 v17, v31
	v_cmp_ne_u32_e32 vcc, v30, v7
	s_or_b64 s[36:37], s[36:37], exec
	s_or_b64 s[38:39], s[38:39], exec
                                        ; implicit-def: $vgpr31
                                        ; implicit-def: $vgpr30
	s_and_saveexec_b64 s[40:41], vcc
	s_cbranch_execz .LBB34_24
; %bb.26:                               ;   in Loop: Header=BB34_25 Depth=3
	v_add_u32_e32 v30, 1, v17
	v_and_b32_e32 v31, 0x7f, v30
	v_lshl_add_u32 v30, v31, 2, v22
	ds_read_b32 v30, v30
	s_andn2_b64 s[38:39], s[38:39], exec
	s_andn2_b64 s[36:37], s[36:37], exec
	s_waitcnt lgkmcnt(0)
	v_cmp_eq_u32_e32 vcc, -1, v30
	s_and_b64 s[42:43], vcc, exec
	s_or_b64 s[38:39], s[38:39], s[42:43]
	s_branch .LBB34_24
.LBB34_27:                              ;   in Loop: Header=BB34_22 Depth=2
	s_or_b64 exec, exec, s[34:35]
	s_and_saveexec_b64 s[34:35], s[30:31]
	s_xor_b64 s[30:31], exec, s[34:35]
	s_cbranch_execz .LBB34_20
; %bb.28:                               ;   in Loop: Header=BB34_22 Depth=2
	v_lshl_add_u32 v7, v17, 2, v3
	ds_read_b32 v30, v7
	v_lshlrev_b64 v[32:33], 3, v[20:21]
	v_mov_b32_e32 v7, s21
	v_add_co_u32_e32 v32, vcc, s20, v32
	s_waitcnt lgkmcnt(0)
	v_ashrrev_i32_e32 v31, 31, v30
	v_addc_co_u32_e32 v33, vcc, v7, v33, vcc
	v_lshlrev_b64 v[30:31], 3, v[30:31]
	v_add_co_u32_e32 v30, vcc, s20, v30
	v_addc_co_u32_e32 v31, vcc, v7, v31, vcc
	global_load_dwordx2 v[34:35], v[30:31], off
	global_load_dwordx2 v[36:37], v[32:33], off
	s_waitcnt vmcnt(0)
	v_pk_fma_f32 v[18:19], v[36:37], v[34:35], v[18:19] op_sel:[1,0,0] op_sel_hi:[0,0,1]
	v_pk_fma_f32 v[18:19], v[36:37], v[34:35], v[18:19] op_sel:[0,1,0] neg_lo:[0,1,0]
	s_branch .LBB34_20
.LBB34_29:                              ;   in Loop: Header=BB34_15 Depth=1
	s_or_b64 exec, exec, s[26:27]
.LBB34_30:                              ;   in Loop: Header=BB34_15 Depth=1
	s_or_b64 exec, exec, s[24:25]
	v_mov_b32_e32 v16, v19
	v_mov_b32_e32 v17, v18
	v_mov_b32_dpp v20, v19 row_shr:1 row_mask:0xf bank_mask:0xf
	v_mov_b32_dpp v21, v18 row_shr:1 row_mask:0xf bank_mask:0xf
	v_pk_add_f32 v[16:17], v[16:17], v[20:21]
	s_nop 1
	v_mov_b32_dpp v18, v16 row_shr:2 row_mask:0xf bank_mask:0xf
	v_mov_b32_dpp v19, v17 row_shr:2 row_mask:0xf bank_mask:0xf
	v_pk_add_f32 v[16:17], v[16:17], v[18:19]
	s_nop 1
	;; [unrolled: 4-line block ×4, first 2 shown]
	v_mov_b32_dpp v18, v16 row_bcast:15 row_mask:0xa bank_mask:0xf
	v_mov_b32_dpp v19, v17 row_bcast:15 row_mask:0xa bank_mask:0xf
	v_pk_add_f32 v[16:17], v[16:17], v[18:19]
	s_nop 1
	v_mov_b32_dpp v18, v16 row_bcast:31 row_mask:0xc bank_mask:0xf
	v_mov_b32_dpp v19, v17 row_bcast:31 row_mask:0xc bank_mask:0xf
	s_and_saveexec_b64 s[24:25], s[0:1]
	s_cbranch_execz .LBB34_13
; %bb.31:                               ;   in Loop: Header=BB34_15 Depth=1
	v_mul_f32_e32 v7, v15, v15
	v_fmac_f32_e32 v7, v14, v14
	v_div_scale_f32 v20, s[26:27], v7, v7, 1.0
	v_rcp_f32_e32 v21, v20
	v_div_scale_f32 v30, vcc, 1.0, v7, 1.0
	v_pk_add_f32 v[16:17], v[16:17], v[18:19]
	v_fma_f32 v31, -v20, v21, 1.0
	v_fmac_f32_e32 v21, v31, v21
	v_mul_f32_e32 v31, v30, v21
	v_fma_f32 v32, -v20, v31, v30
	v_fmac_f32_e32 v31, v32, v21
	v_fma_f32 v20, -v20, v31, v30
	v_div_fmas_f32 v20, v20, v21, v31
	v_div_fixup_f32 v7, v20, v7, 1.0
	v_fma_f32 v20, 0, v15, v14
	v_fma_f32 v14, v14, 0, -v15
	v_mul_f32_e32 v14, v14, v7
	v_pk_add_f32 v[12:13], v[12:13], v[16:17] neg_lo:[0,1] neg_hi:[0,1]
	v_mul_f32_e32 v20, v20, v7
	v_pk_mul_f32 v[14:15], v[14:15], v[12:13] op_sel:[0,1] op_sel_hi:[0,0] neg_lo:[0,1]
	v_pk_fma_f32 v[12:13], v[12:13], v[20:21], v[14:15] op_sel_hi:[1,0,1]
	v_xor_b32_e32 v14, 0x80000000, v13
	v_pk_fma_f32 v[8:9], v[12:13], v[12:13], v[8:9] op_sel:[1,0,0] op_sel_hi:[0,0,1]
	v_mov_b32_e32 v15, v13
	v_pk_fma_f32 v[8:9], v[12:13], v[14:15], v[8:9]
	global_store_dwordx2 v[10:11], v[12:13], off
	s_branch .LBB34_13
.LBB34_32:
	s_or_b64 exec, exec, s[10:11]
.LBB34_33:
	s_or_b64 exec, exec, s[6:7]
	v_cmp_eq_u32_e64 s[0:1], 63, v5
	v_cmp_lt_i32_e32 vcc, -1, v4
	s_and_b64 s[2:3], s[0:1], vcc
	s_and_saveexec_b64 s[6:7], s[2:3]
	s_cbranch_execz .LBB34_50
; %bb.34:
	v_mov_b32_e32 v5, 0
	v_lshlrev_b64 v[4:5], 3, v[4:5]
	v_mov_b32_e32 v3, s21
	v_add_co_u32_e32 v4, vcc, s20, v4
	v_addc_co_u32_e32 v5, vcc, v3, v5, vcc
	global_load_dwordx2 v[6:7], v[4:5], off
	s_load_dwordx2 s[2:3], s[4:5], 0x48
	v_add_u32_e32 v2, s33, v2
	s_waitcnt lgkmcnt(0)
	v_mul_f64 v[10:11], s[2:3], s[2:3]
	s_waitcnt vmcnt(0)
	v_pk_add_f32 v[6:7], v[6:7], v[8:9] op_sel:[1,0] op_sel_hi:[0,1] neg_lo:[0,1] neg_hi:[0,1]
	v_cvt_f64_f32_e32 v[8:9], v7
	v_cmp_eq_f32_e32 vcc, 0, v6
	v_cmp_ge_f64_e64 s[2:3], v[10:11], v[8:9]
	s_and_b64 s[4:5], s[2:3], vcc
	s_and_saveexec_b64 s[2:3], s[4:5]
	s_cbranch_execz .LBB34_39
; %bb.35:
	s_mov_b64 s[4:5], exec
	s_brev_b32 s10, -2
.LBB34_36:                              ; =>This Inner Loop Header: Depth=1
	s_ff1_i32_b64 s11, s[4:5]
	v_readlane_b32 s18, v2, s11
	s_lshl_b64 s[16:17], 1, s11
	s_min_i32 s10, s10, s18
	s_andn2_b64 s[4:5], s[4:5], s[16:17]
	s_cmp_lg_u64 s[4:5], 0
	s_cbranch_scc1 .LBB34_36
; %bb.37:
	v_mbcnt_lo_u32_b32 v3, exec_lo, 0
	v_mbcnt_hi_u32_b32 v3, exec_hi, v3
	v_cmp_eq_u32_e32 vcc, 0, v3
	s_and_saveexec_b64 s[4:5], vcc
	s_xor_b64 s[4:5], exec, s[4:5]
	s_cbranch_execz .LBB34_39
; %bb.38:
	v_mov_b32_e32 v3, 0
	v_mov_b32_e32 v8, s10
	global_atomic_smin v3, v8, s[14:15]
.LBB34_39:
	s_or_b64 exec, exec, s[2:3]
	v_cmp_gt_f32_e32 vcc, 0, v6
	v_cndmask_b32_e64 v3, v6, -v6, vcc
	v_cmp_gt_f32_e32 vcc, 0, v7
	v_cndmask_b32_e64 v7, v7, -v7, vcc
	v_cmp_ngt_f32_e32 vcc, v7, v3
                                        ; implicit-def: $vgpr8
	s_and_saveexec_b64 s[2:3], vcc
	s_xor_b64 s[4:5], exec, s[2:3]
	s_cbranch_execz .LBB34_43
; %bb.40:
	v_cmp_neq_f32_e32 vcc, 0, v6
	v_mov_b32_e32 v8, 0
	s_and_saveexec_b64 s[10:11], vcc
	s_cbranch_execz .LBB34_42
; %bb.41:
	v_div_scale_f32 v6, s[2:3], v3, v3, v7
	v_rcp_f32_e32 v8, v6
	v_div_scale_f32 v9, vcc, v7, v3, v7
	s_mov_b32 s2, 0xf800000
	v_fma_f32 v10, -v6, v8, 1.0
	v_fmac_f32_e32 v8, v10, v8
	v_mul_f32_e32 v10, v9, v8
	v_fma_f32 v11, -v6, v10, v9
	v_fmac_f32_e32 v10, v11, v8
	v_fma_f32 v6, -v6, v10, v9
	v_div_fmas_f32 v6, v6, v8, v10
	v_div_fixup_f32 v6, v6, v3, v7
	v_fma_f32 v6, v6, v6, 1.0
	v_mul_f32_e32 v7, 0x4f800000, v6
	v_cmp_gt_f32_e32 vcc, s2, v6
	v_cndmask_b32_e32 v6, v6, v7, vcc
	v_sqrt_f32_e32 v7, v6
	v_add_u32_e32 v8, -1, v7
	v_fma_f32 v9, -v8, v7, v6
	v_cmp_ge_f32_e64 s[2:3], 0, v9
	v_add_u32_e32 v9, 1, v7
	v_cndmask_b32_e64 v8, v7, v8, s[2:3]
	v_fma_f32 v7, -v9, v7, v6
	v_cmp_lt_f32_e64 s[2:3], 0, v7
	v_cndmask_b32_e64 v7, v8, v9, s[2:3]
	v_mul_f32_e32 v8, 0x37800000, v7
	v_cndmask_b32_e32 v7, v7, v8, vcc
	v_mov_b32_e32 v8, 0x260
	v_cmp_class_f32_e32 vcc, v6, v8
	v_cndmask_b32_e32 v6, v7, v6, vcc
	v_mul_f32_e32 v8, v3, v6
.LBB34_42:
	s_or_b64 exec, exec, s[10:11]
                                        ; implicit-def: $vgpr7
                                        ; implicit-def: $vgpr3
.LBB34_43:
	s_andn2_saveexec_b64 s[4:5], s[4:5]
	s_cbranch_execz .LBB34_45
; %bb.44:
	v_div_scale_f32 v6, s[2:3], v7, v7, v3
	v_rcp_f32_e32 v8, v6
	v_div_scale_f32 v9, vcc, v3, v7, v3
	s_mov_b32 s2, 0xf800000
	v_fma_f32 v10, -v6, v8, 1.0
	v_fmac_f32_e32 v8, v10, v8
	v_mul_f32_e32 v10, v9, v8
	v_fma_f32 v11, -v6, v10, v9
	v_fmac_f32_e32 v10, v11, v8
	v_fma_f32 v6, -v6, v10, v9
	v_div_fmas_f32 v6, v6, v8, v10
	v_div_fixup_f32 v3, v6, v7, v3
	v_fma_f32 v3, v3, v3, 1.0
	v_mul_f32_e32 v6, 0x4f800000, v3
	v_cmp_gt_f32_e32 vcc, s2, v3
	v_cndmask_b32_e32 v3, v3, v6, vcc
	v_sqrt_f32_e32 v6, v3
	v_add_u32_e32 v8, -1, v6
	v_fma_f32 v9, -v8, v6, v3
	v_cmp_ge_f32_e64 s[2:3], 0, v9
	v_add_u32_e32 v9, 1, v6
	v_cndmask_b32_e64 v8, v6, v8, s[2:3]
	v_fma_f32 v6, -v9, v6, v3
	v_cmp_lt_f32_e64 s[2:3], 0, v6
	v_cndmask_b32_e64 v6, v8, v9, s[2:3]
	v_mul_f32_e32 v8, 0x37800000, v6
	v_cndmask_b32_e32 v6, v6, v8, vcc
	v_mov_b32_e32 v8, 0x260
	v_cmp_class_f32_e32 vcc, v3, v8
	v_cndmask_b32_e32 v3, v6, v3, vcc
	v_mul_f32_e32 v8, v7, v3
.LBB34_45:
	s_or_b64 exec, exec, s[4:5]
	s_mov_b32 s2, 0xf800000
	v_mul_f32_e32 v3, 0x4f800000, v8
	v_cmp_gt_f32_e32 vcc, s2, v8
	v_cndmask_b32_e32 v3, v8, v3, vcc
	v_sqrt_f32_e32 v6, v3
	v_add_u32_e32 v7, -1, v6
	v_fma_f32 v8, -v7, v6, v3
	v_cmp_ge_f32_e64 s[2:3], 0, v8
	v_add_u32_e32 v8, 1, v6
	v_cndmask_b32_e64 v7, v6, v7, s[2:3]
	v_fma_f32 v6, -v8, v6, v3
	v_cmp_lt_f32_e64 s[2:3], 0, v6
	v_cndmask_b32_e64 v6, v7, v8, s[2:3]
	v_mul_f32_e32 v7, 0x37800000, v6
	v_cndmask_b32_e32 v6, v6, v7, vcc
	v_mov_b32_e32 v7, 0x260
	v_cmp_class_f32_e32 vcc, v3, v7
	v_cndmask_b32_e32 v6, v6, v3, vcc
	v_mov_b32_e32 v7, 0
	v_cmp_eq_f32_e32 vcc, 0, v6
	global_store_dwordx2 v[4:5], v[6:7], off
	s_and_b64 exec, exec, vcc
	s_cbranch_execz .LBB34_50
; %bb.46:
	s_mov_b64 s[2:3], exec
	s_brev_b32 s4, -2
.LBB34_47:                              ; =>This Inner Loop Header: Depth=1
	s_ff1_i32_b64 s5, s[2:3]
	v_readlane_b32 s14, v2, s5
	s_lshl_b64 s[10:11], 1, s5
	s_min_i32 s4, s4, s14
	s_andn2_b64 s[2:3], s[2:3], s[10:11]
	s_cmp_lg_u64 s[2:3], 0
	s_cbranch_scc1 .LBB34_47
; %bb.48:
	v_mbcnt_lo_u32_b32 v2, exec_lo, 0
	v_mbcnt_hi_u32_b32 v2, exec_hi, v2
	v_cmp_eq_u32_e32 vcc, 0, v2
	s_and_saveexec_b64 s[2:3], vcc
	s_xor_b64 s[2:3], exec, s[2:3]
	s_cbranch_execz .LBB34_50
; %bb.49:
	v_mov_b32_e32 v2, 0
	v_mov_b32_e32 v3, s4
	global_atomic_smin v2, v3, s[12:13]
.LBB34_50:
	s_or_b64 exec, exec, s[6:7]
	s_and_b64 exec, exec, s[0:1]
	s_cbranch_execz .LBB34_52
; %bb.51:
	v_mov_b32_e32 v2, s9
	v_add_co_u32_e32 v0, vcc, s8, v0
	v_addc_co_u32_e32 v1, vcc, v2, v1, vcc
	v_mov_b32_e32 v2, 1
	s_waitcnt vmcnt(0)
	global_store_dword v[0:1], v2, off
.LBB34_52:
	s_endpgm
	.section	.rodata,"a",@progbits
	.p2align	6, 0x0
	.amdhsa_kernel _ZN9rocsparseL18csric0_hash_kernelILj256ELj64ELj2E21rocsparse_complex_numIfEEEviPKiS4_PT2_S4_PiS4_S7_S7_d21rocsparse_index_base_
		.amdhsa_group_segment_fixed_size 4096
		.amdhsa_private_segment_fixed_size 0
		.amdhsa_kernarg_size 84
		.amdhsa_user_sgpr_count 6
		.amdhsa_user_sgpr_private_segment_buffer 1
		.amdhsa_user_sgpr_dispatch_ptr 0
		.amdhsa_user_sgpr_queue_ptr 0
		.amdhsa_user_sgpr_kernarg_segment_ptr 1
		.amdhsa_user_sgpr_dispatch_id 0
		.amdhsa_user_sgpr_flat_scratch_init 0
		.amdhsa_user_sgpr_kernarg_preload_length 0
		.amdhsa_user_sgpr_kernarg_preload_offset 0
		.amdhsa_user_sgpr_private_segment_size 0
		.amdhsa_uses_dynamic_stack 0
		.amdhsa_system_sgpr_private_segment_wavefront_offset 0
		.amdhsa_system_sgpr_workgroup_id_x 1
		.amdhsa_system_sgpr_workgroup_id_y 0
		.amdhsa_system_sgpr_workgroup_id_z 0
		.amdhsa_system_sgpr_workgroup_info 0
		.amdhsa_system_vgpr_workitem_id 0
		.amdhsa_next_free_vgpr 38
		.amdhsa_next_free_sgpr 44
		.amdhsa_accum_offset 40
		.amdhsa_reserve_vcc 1
		.amdhsa_reserve_flat_scratch 0
		.amdhsa_float_round_mode_32 0
		.amdhsa_float_round_mode_16_64 0
		.amdhsa_float_denorm_mode_32 3
		.amdhsa_float_denorm_mode_16_64 3
		.amdhsa_dx10_clamp 1
		.amdhsa_ieee_mode 1
		.amdhsa_fp16_overflow 0
		.amdhsa_tg_split 0
		.amdhsa_exception_fp_ieee_invalid_op 0
		.amdhsa_exception_fp_denorm_src 0
		.amdhsa_exception_fp_ieee_div_zero 0
		.amdhsa_exception_fp_ieee_overflow 0
		.amdhsa_exception_fp_ieee_underflow 0
		.amdhsa_exception_fp_ieee_inexact 0
		.amdhsa_exception_int_div_zero 0
	.end_amdhsa_kernel
	.section	.text._ZN9rocsparseL18csric0_hash_kernelILj256ELj64ELj2E21rocsparse_complex_numIfEEEviPKiS4_PT2_S4_PiS4_S7_S7_d21rocsparse_index_base_,"axG",@progbits,_ZN9rocsparseL18csric0_hash_kernelILj256ELj64ELj2E21rocsparse_complex_numIfEEEviPKiS4_PT2_S4_PiS4_S7_S7_d21rocsparse_index_base_,comdat
.Lfunc_end34:
	.size	_ZN9rocsparseL18csric0_hash_kernelILj256ELj64ELj2E21rocsparse_complex_numIfEEEviPKiS4_PT2_S4_PiS4_S7_S7_d21rocsparse_index_base_, .Lfunc_end34-_ZN9rocsparseL18csric0_hash_kernelILj256ELj64ELj2E21rocsparse_complex_numIfEEEviPKiS4_PT2_S4_PiS4_S7_S7_d21rocsparse_index_base_
                                        ; -- End function
	.section	.AMDGPU.csdata,"",@progbits
; Kernel info:
; codeLenInByte = 2560
; NumSgprs: 48
; NumVgprs: 38
; NumAgprs: 0
; TotalNumVgprs: 38
; ScratchSize: 0
; MemoryBound: 0
; FloatMode: 240
; IeeeMode: 1
; LDSByteSize: 4096 bytes/workgroup (compile time only)
; SGPRBlocks: 5
; VGPRBlocks: 4
; NumSGPRsForWavesPerEU: 48
; NumVGPRsForWavesPerEU: 38
; AccumOffset: 40
; Occupancy: 8
; WaveLimiterHint : 1
; COMPUTE_PGM_RSRC2:SCRATCH_EN: 0
; COMPUTE_PGM_RSRC2:USER_SGPR: 6
; COMPUTE_PGM_RSRC2:TRAP_HANDLER: 0
; COMPUTE_PGM_RSRC2:TGID_X_EN: 1
; COMPUTE_PGM_RSRC2:TGID_Y_EN: 0
; COMPUTE_PGM_RSRC2:TGID_Z_EN: 0
; COMPUTE_PGM_RSRC2:TIDIG_COMP_CNT: 0
; COMPUTE_PGM_RSRC3_GFX90A:ACCUM_OFFSET: 9
; COMPUTE_PGM_RSRC3_GFX90A:TG_SPLIT: 0
	.section	.text._ZN9rocsparseL18csric0_hash_kernelILj256ELj64ELj4E21rocsparse_complex_numIfEEEviPKiS4_PT2_S4_PiS4_S7_S7_d21rocsparse_index_base_,"axG",@progbits,_ZN9rocsparseL18csric0_hash_kernelILj256ELj64ELj4E21rocsparse_complex_numIfEEEviPKiS4_PT2_S4_PiS4_S7_S7_d21rocsparse_index_base_,comdat
	.globl	_ZN9rocsparseL18csric0_hash_kernelILj256ELj64ELj4E21rocsparse_complex_numIfEEEviPKiS4_PT2_S4_PiS4_S7_S7_d21rocsparse_index_base_ ; -- Begin function _ZN9rocsparseL18csric0_hash_kernelILj256ELj64ELj4E21rocsparse_complex_numIfEEEviPKiS4_PT2_S4_PiS4_S7_S7_d21rocsparse_index_base_
	.p2align	8
	.type	_ZN9rocsparseL18csric0_hash_kernelILj256ELj64ELj4E21rocsparse_complex_numIfEEEviPKiS4_PT2_S4_PiS4_S7_S7_d21rocsparse_index_base_,@function
_ZN9rocsparseL18csric0_hash_kernelILj256ELj64ELj4E21rocsparse_complex_numIfEEEviPKiS4_PT2_S4_PiS4_S7_S7_d21rocsparse_index_base_: ; @_ZN9rocsparseL18csric0_hash_kernelILj256ELj64ELj4E21rocsparse_complex_numIfEEEviPKiS4_PT2_S4_PiS4_S7_S7_d21rocsparse_index_base_
; %bb.0:
	s_load_dword s0, s[4:5], 0x0
	v_lshlrev_b32_e32 v1, 2, v0
	s_lshl_b32 s1, s6, 2
	v_and_b32_e32 v5, 63, v0
	v_and_b32_e32 v6, 0x300, v1
	v_mov_b32_e32 v1, 0x1000
	v_lshrrev_b32_e32 v0, 6, v0
	s_and_b32 s1, s1, 0x3fffffc
	v_lshl_or_b32 v22, v6, 2, v1
	v_or_b32_e32 v0, s1, v0
	v_lshl_or_b32 v1, v5, 2, v22
	v_mov_b32_e32 v2, -1
	s_waitcnt lgkmcnt(0)
	v_cmp_gt_i32_e32 vcc, s0, v0
	ds_write2st64_b32 v1, v2, v2 offset1:1
	ds_write2st64_b32 v1, v2, v2 offset0:2 offset1:3
	s_waitcnt lgkmcnt(0)
	s_and_saveexec_b64 s[0:1], vcc
	s_cbranch_execz .LBB35_52
; %bb.1:
	s_load_dwordx8 s[8:15], s[4:5], 0x28
	v_lshlrev_b32_e32 v0, 2, v0
	s_load_dwordx8 s[16:23], s[4:5], 0x8
	s_load_dword s33, s[4:5], 0x50
	s_waitcnt lgkmcnt(0)
	global_load_dword v2, v0, s[10:11]
	v_mov_b32_e32 v7, s17
	v_mov_b32_e32 v4, s23
	s_waitcnt vmcnt(0)
	v_ashrrev_i32_e32 v3, 31, v2
	v_lshlrev_b64 v[0:1], 2, v[2:3]
	v_add_co_u32_e32 v8, vcc, s16, v0
	v_addc_co_u32_e32 v9, vcc, v7, v1, vcc
	global_load_dwordx2 v[8:9], v[8:9], off
	v_add_co_u32_e32 v10, vcc, s22, v0
	v_addc_co_u32_e32 v11, vcc, v4, v1, vcc
	global_load_dword v4, v[10:11], off
	v_lshlrev_b32_e32 v3, 2, v6
	s_waitcnt vmcnt(1)
	v_subrev_u32_e32 v6, s33, v8
	v_subrev_u32_e32 v7, s33, v9
	v_add_u32_e32 v8, v6, v5
	v_cmp_lt_i32_e32 vcc, v8, v7
	s_and_saveexec_b64 s[0:1], vcc
	s_cbranch_execz .LBB35_11
; %bb.2:
	s_mov_b64 s[2:3], 0
	v_mov_b32_e32 v10, s19
	s_movk_i32 s34, 0x67
	v_mov_b32_e32 v11, -1
	s_branch .LBB35_4
.LBB35_3:                               ;   in Loop: Header=BB35_4 Depth=1
	s_or_b64 exec, exec, s[6:7]
	v_add_u32_e32 v8, 64, v8
	v_cmp_ge_i32_e32 vcc, v8, v7
	s_or_b64 s[2:3], vcc, s[2:3]
	s_andn2_b64 exec, exec, s[2:3]
	s_cbranch_execz .LBB35_11
.LBB35_4:                               ; =>This Loop Header: Depth=1
                                        ;     Child Loop BB35_7 Depth 2
	v_ashrrev_i32_e32 v9, 31, v8
	v_lshlrev_b64 v[12:13], 2, v[8:9]
	v_add_co_u32_e32 v12, vcc, s18, v12
	v_addc_co_u32_e32 v13, vcc, v10, v13, vcc
	global_load_dword v9, v[12:13], off
	s_waitcnt vmcnt(0)
	v_mul_lo_u32 v12, v9, s34
	v_and_b32_e32 v12, 0xff, v12
	v_lshl_add_u32 v13, v12, 2, v22
	ds_read_b32 v14, v13
	s_waitcnt lgkmcnt(0)
	v_cmp_ne_u32_e32 vcc, v14, v9
	s_and_saveexec_b64 s[6:7], vcc
	s_cbranch_execz .LBB35_3
; %bb.5:                                ;   in Loop: Header=BB35_4 Depth=1
	s_mov_b64 s[10:11], 0
                                        ; implicit-def: $sgpr24_sgpr25
                                        ; implicit-def: $sgpr28_sgpr29
                                        ; implicit-def: $sgpr26_sgpr27
	s_branch .LBB35_7
.LBB35_6:                               ;   in Loop: Header=BB35_7 Depth=2
	s_or_b64 exec, exec, s[30:31]
	s_and_b64 s[30:31], exec, s[28:29]
	s_or_b64 s[10:11], s[30:31], s[10:11]
	s_andn2_b64 s[24:25], s[24:25], exec
	s_and_b64 s[30:31], s[26:27], exec
	s_or_b64 s[24:25], s[24:25], s[30:31]
	s_andn2_b64 exec, exec, s[10:11]
	s_cbranch_execz .LBB35_9
.LBB35_7:                               ;   Parent Loop BB35_4 Depth=1
                                        ; =>  This Inner Loop Header: Depth=2
	ds_cmpst_rtn_b32 v13, v13, v11, v9
	v_mov_b32_e32 v14, v12
	s_or_b64 s[26:27], s[26:27], exec
	s_or_b64 s[28:29], s[28:29], exec
                                        ; implicit-def: $vgpr12
	s_waitcnt lgkmcnt(0)
	v_cmp_ne_u32_e32 vcc, -1, v13
                                        ; implicit-def: $vgpr13
	s_and_saveexec_b64 s[30:31], vcc
	s_cbranch_execz .LBB35_6
; %bb.8:                                ;   in Loop: Header=BB35_7 Depth=2
	v_add_u32_e32 v12, 1, v14
	v_and_b32_e32 v12, 0xff, v12
	v_lshl_add_u32 v13, v12, 2, v22
	ds_read_b32 v15, v13
	s_andn2_b64 s[28:29], s[28:29], exec
	s_andn2_b64 s[26:27], s[26:27], exec
	s_waitcnt lgkmcnt(0)
	v_cmp_eq_u32_e32 vcc, v15, v9
	s_and_b64 s[36:37], vcc, exec
	s_or_b64 s[28:29], s[28:29], s[36:37]
	s_branch .LBB35_6
.LBB35_9:                               ;   in Loop: Header=BB35_4 Depth=1
	s_or_b64 exec, exec, s[10:11]
	s_and_saveexec_b64 s[10:11], s[24:25]
	s_xor_b64 s[10:11], exec, s[10:11]
	s_cbranch_execz .LBB35_3
; %bb.10:                               ;   in Loop: Header=BB35_4 Depth=1
	v_lshl_add_u32 v9, v14, 2, v3
	ds_write_b32 v9, v8
	s_branch .LBB35_3
.LBB35_11:
	s_or_b64 exec, exec, s[0:1]
	v_mov_b32_e32 v9, 0
	s_waitcnt vmcnt(0)
	v_cmp_lt_i32_e32 vcc, v6, v4
	v_mov_b32_e32 v8, v9
	s_waitcnt lgkmcnt(0)
	s_and_saveexec_b64 s[6:7], vcc
	s_cbranch_execz .LBB35_33
; %bb.12:
	v_mov_b32_e32 v8, 0
	v_add_u32_e32 v23, -1, v4
	v_subrev_u32_e32 v24, s33, v5
	v_cmp_eq_u32_e64 s[0:1], 63, v5
	s_mov_b64 s[10:11], 0
	v_mov_b32_e32 v25, s19
	v_mov_b32_e32 v26, s21
	;; [unrolled: 1-line block ×5, first 2 shown]
	s_movk_i32 s17, 0x67
	v_mov_b32_e32 v9, v8
	s_branch .LBB35_15
.LBB35_13:                              ;   in Loop: Header=BB35_15 Depth=1
	s_or_b64 exec, exec, s[24:25]
	v_add_u32_e32 v6, 1, v6
	v_cmp_ge_i32_e32 vcc, v6, v4
	s_orn2_b64 s[24:25], vcc, exec
.LBB35_14:                              ;   in Loop: Header=BB35_15 Depth=1
	s_or_b64 exec, exec, s[2:3]
	s_and_b64 s[2:3], exec, s[24:25]
	s_or_b64 s[10:11], s[2:3], s[10:11]
	s_andn2_b64 exec, exec, s[10:11]
	s_cbranch_execz .LBB35_32
.LBB35_15:                              ; =>This Loop Header: Depth=1
                                        ;     Child Loop BB35_16 Depth 2
                                        ;     Child Loop BB35_22 Depth 2
                                        ;       Child Loop BB35_25 Depth 3
	v_ashrrev_i32_e32 v7, 31, v6
	v_lshlrev_b64 v[10:11], 2, v[6:7]
	v_add_co_u32_e32 v10, vcc, s18, v10
	v_addc_co_u32_e32 v11, vcc, v25, v11, vcc
	global_load_dword v14, v[10:11], off
	v_lshlrev_b64 v[10:11], 3, v[6:7]
	v_add_co_u32_e32 v10, vcc, s20, v10
	v_addc_co_u32_e32 v11, vcc, v26, v11, vcc
	global_load_dwordx2 v[12:13], v[10:11], off
	s_mov_b64 s[2:3], 0
	s_waitcnt vmcnt(1)
	v_subrev_u32_e32 v14, s33, v14
	v_ashrrev_i32_e32 v15, 31, v14
	v_lshlrev_b64 v[14:15], 2, v[14:15]
	v_add_co_u32_e32 v18, vcc, s16, v14
	v_addc_co_u32_e32 v19, vcc, v27, v15, vcc
	v_add_co_u32_e32 v20, vcc, s22, v14
	v_addc_co_u32_e32 v21, vcc, v28, v15, vcc
	global_load_dword v7, v[18:19], off
	global_load_dword v16, v[20:21], off
	v_add_co_u32_e32 v14, vcc, s8, v14
	v_addc_co_u32_e32 v15, vcc, v29, v15, vcc
.LBB35_16:                              ;   Parent Loop BB35_15 Depth=1
                                        ; =>  This Inner Loop Header: Depth=2
	global_load_dword v17, v[14:15], off glc
	s_waitcnt vmcnt(0)
	v_cmp_ne_u32_e32 vcc, 0, v17
	s_or_b64 s[2:3], vcc, s[2:3]
	s_andn2_b64 exec, exec, s[2:3]
	s_cbranch_execnz .LBB35_16
; %bb.17:                               ;   in Loop: Header=BB35_15 Depth=1
	s_or_b64 exec, exec, s[2:3]
	v_cmp_eq_u32_e32 vcc, -1, v16
	v_cndmask_b32_e32 v16, v16, v23, vcc
	v_ashrrev_i32_e32 v17, 31, v16
	v_lshlrev_b64 v[14:15], 3, v[16:17]
	v_add_co_u32_e32 v14, vcc, s20, v14
	v_addc_co_u32_e32 v15, vcc, v26, v15, vcc
	buffer_wbinvl1_vol
	global_load_dwordx2 v[14:15], v[14:15], off
	s_mov_b64 s[24:25], -1
	s_waitcnt vmcnt(0)
	v_cmp_neq_f32_e32 vcc, 0, v14
	v_cmp_neq_f32_e64 s[2:3], 0, v15
	s_or_b64 s[26:27], vcc, s[2:3]
	s_and_saveexec_b64 s[2:3], s[26:27]
	s_cbranch_execz .LBB35_14
; %bb.18:                               ;   in Loop: Header=BB35_15 Depth=1
	v_add_u32_e32 v20, v24, v7
	v_mov_b32_e32 v19, 0
	v_cmp_lt_i32_e32 vcc, v20, v16
	v_mov_b32_e32 v18, v19
	s_and_saveexec_b64 s[24:25], vcc
	s_cbranch_execz .LBB35_30
; %bb.19:                               ;   in Loop: Header=BB35_15 Depth=1
	v_mov_b32_e32 v18, 0
	s_mov_b64 s[26:27], 0
	v_mov_b32_e32 v19, v18
	s_branch .LBB35_22
.LBB35_20:                              ;   in Loop: Header=BB35_22 Depth=2
	s_or_b64 exec, exec, s[30:31]
.LBB35_21:                              ;   in Loop: Header=BB35_22 Depth=2
	s_or_b64 exec, exec, s[28:29]
	v_add_u32_e32 v20, 64, v20
	v_cmp_ge_i32_e32 vcc, v20, v16
	s_or_b64 s[26:27], vcc, s[26:27]
	s_andn2_b64 exec, exec, s[26:27]
	s_cbranch_execz .LBB35_29
.LBB35_22:                              ;   Parent Loop BB35_15 Depth=1
                                        ; =>  This Loop Header: Depth=2
                                        ;       Child Loop BB35_25 Depth 3
	v_ashrrev_i32_e32 v21, 31, v20
	v_lshlrev_b64 v[30:31], 2, v[20:21]
	v_add_co_u32_e32 v30, vcc, s18, v30
	v_addc_co_u32_e32 v31, vcc, v25, v31, vcc
	global_load_dword v7, v[30:31], off
	s_waitcnt vmcnt(0)
	v_mul_lo_u32 v17, v7, s17
	v_and_b32_e32 v31, 0xff, v17
	v_lshl_add_u32 v17, v31, 2, v22
	ds_read_b32 v30, v17
	s_waitcnt lgkmcnt(0)
	v_cmp_ne_u32_e32 vcc, -1, v30
	s_and_saveexec_b64 s[28:29], vcc
	s_cbranch_execz .LBB35_21
; %bb.23:                               ;   in Loop: Header=BB35_22 Depth=2
	s_mov_b64 s[34:35], 0
                                        ; implicit-def: $sgpr30_sgpr31
                                        ; implicit-def: $sgpr38_sgpr39
                                        ; implicit-def: $sgpr36_sgpr37
	s_branch .LBB35_25
.LBB35_24:                              ;   in Loop: Header=BB35_25 Depth=3
	s_or_b64 exec, exec, s[40:41]
	s_and_b64 s[40:41], exec, s[38:39]
	s_or_b64 s[34:35], s[40:41], s[34:35]
	s_andn2_b64 s[30:31], s[30:31], exec
	s_and_b64 s[40:41], s[36:37], exec
	s_or_b64 s[30:31], s[30:31], s[40:41]
	s_andn2_b64 exec, exec, s[34:35]
	s_cbranch_execz .LBB35_27
.LBB35_25:                              ;   Parent Loop BB35_15 Depth=1
                                        ;     Parent Loop BB35_22 Depth=2
                                        ; =>    This Inner Loop Header: Depth=3
	v_mov_b32_e32 v17, v31
	v_cmp_ne_u32_e32 vcc, v30, v7
	s_or_b64 s[36:37], s[36:37], exec
	s_or_b64 s[38:39], s[38:39], exec
                                        ; implicit-def: $vgpr31
                                        ; implicit-def: $vgpr30
	s_and_saveexec_b64 s[40:41], vcc
	s_cbranch_execz .LBB35_24
; %bb.26:                               ;   in Loop: Header=BB35_25 Depth=3
	v_add_u32_e32 v30, 1, v17
	v_and_b32_e32 v31, 0xff, v30
	v_lshl_add_u32 v30, v31, 2, v22
	ds_read_b32 v30, v30
	s_andn2_b64 s[38:39], s[38:39], exec
	s_andn2_b64 s[36:37], s[36:37], exec
	s_waitcnt lgkmcnt(0)
	v_cmp_eq_u32_e32 vcc, -1, v30
	s_and_b64 s[42:43], vcc, exec
	s_or_b64 s[38:39], s[38:39], s[42:43]
	s_branch .LBB35_24
.LBB35_27:                              ;   in Loop: Header=BB35_22 Depth=2
	s_or_b64 exec, exec, s[34:35]
	s_and_saveexec_b64 s[34:35], s[30:31]
	s_xor_b64 s[30:31], exec, s[34:35]
	s_cbranch_execz .LBB35_20
; %bb.28:                               ;   in Loop: Header=BB35_22 Depth=2
	v_lshl_add_u32 v7, v17, 2, v3
	ds_read_b32 v30, v7
	v_lshlrev_b64 v[32:33], 3, v[20:21]
	v_mov_b32_e32 v7, s21
	v_add_co_u32_e32 v32, vcc, s20, v32
	s_waitcnt lgkmcnt(0)
	v_ashrrev_i32_e32 v31, 31, v30
	v_addc_co_u32_e32 v33, vcc, v7, v33, vcc
	v_lshlrev_b64 v[30:31], 3, v[30:31]
	v_add_co_u32_e32 v30, vcc, s20, v30
	v_addc_co_u32_e32 v31, vcc, v7, v31, vcc
	global_load_dwordx2 v[34:35], v[30:31], off
	global_load_dwordx2 v[36:37], v[32:33], off
	s_waitcnt vmcnt(0)
	v_pk_fma_f32 v[18:19], v[36:37], v[34:35], v[18:19] op_sel:[1,0,0] op_sel_hi:[0,0,1]
	v_pk_fma_f32 v[18:19], v[36:37], v[34:35], v[18:19] op_sel:[0,1,0] neg_lo:[0,1,0]
	s_branch .LBB35_20
.LBB35_29:                              ;   in Loop: Header=BB35_15 Depth=1
	s_or_b64 exec, exec, s[26:27]
.LBB35_30:                              ;   in Loop: Header=BB35_15 Depth=1
	s_or_b64 exec, exec, s[24:25]
	v_mov_b32_e32 v16, v19
	v_mov_b32_e32 v17, v18
	v_mov_b32_dpp v20, v19 row_shr:1 row_mask:0xf bank_mask:0xf
	v_mov_b32_dpp v21, v18 row_shr:1 row_mask:0xf bank_mask:0xf
	v_pk_add_f32 v[16:17], v[16:17], v[20:21]
	s_nop 1
	v_mov_b32_dpp v18, v16 row_shr:2 row_mask:0xf bank_mask:0xf
	v_mov_b32_dpp v19, v17 row_shr:2 row_mask:0xf bank_mask:0xf
	v_pk_add_f32 v[16:17], v[16:17], v[18:19]
	s_nop 1
	;; [unrolled: 4-line block ×4, first 2 shown]
	v_mov_b32_dpp v18, v16 row_bcast:15 row_mask:0xa bank_mask:0xf
	v_mov_b32_dpp v19, v17 row_bcast:15 row_mask:0xa bank_mask:0xf
	v_pk_add_f32 v[16:17], v[16:17], v[18:19]
	s_nop 1
	v_mov_b32_dpp v18, v16 row_bcast:31 row_mask:0xc bank_mask:0xf
	v_mov_b32_dpp v19, v17 row_bcast:31 row_mask:0xc bank_mask:0xf
	s_and_saveexec_b64 s[24:25], s[0:1]
	s_cbranch_execz .LBB35_13
; %bb.31:                               ;   in Loop: Header=BB35_15 Depth=1
	v_mul_f32_e32 v7, v15, v15
	v_fmac_f32_e32 v7, v14, v14
	v_div_scale_f32 v20, s[26:27], v7, v7, 1.0
	v_rcp_f32_e32 v21, v20
	v_div_scale_f32 v30, vcc, 1.0, v7, 1.0
	v_pk_add_f32 v[16:17], v[16:17], v[18:19]
	v_fma_f32 v31, -v20, v21, 1.0
	v_fmac_f32_e32 v21, v31, v21
	v_mul_f32_e32 v31, v30, v21
	v_fma_f32 v32, -v20, v31, v30
	v_fmac_f32_e32 v31, v32, v21
	v_fma_f32 v20, -v20, v31, v30
	v_div_fmas_f32 v20, v20, v21, v31
	v_div_fixup_f32 v7, v20, v7, 1.0
	v_fma_f32 v20, 0, v15, v14
	v_fma_f32 v14, v14, 0, -v15
	v_mul_f32_e32 v14, v14, v7
	v_pk_add_f32 v[12:13], v[12:13], v[16:17] neg_lo:[0,1] neg_hi:[0,1]
	v_mul_f32_e32 v20, v20, v7
	v_pk_mul_f32 v[14:15], v[14:15], v[12:13] op_sel:[0,1] op_sel_hi:[0,0] neg_lo:[0,1]
	v_pk_fma_f32 v[12:13], v[12:13], v[20:21], v[14:15] op_sel_hi:[1,0,1]
	v_xor_b32_e32 v14, 0x80000000, v13
	v_pk_fma_f32 v[8:9], v[12:13], v[12:13], v[8:9] op_sel:[1,0,0] op_sel_hi:[0,0,1]
	v_mov_b32_e32 v15, v13
	v_pk_fma_f32 v[8:9], v[12:13], v[14:15], v[8:9]
	global_store_dwordx2 v[10:11], v[12:13], off
	s_branch .LBB35_13
.LBB35_32:
	s_or_b64 exec, exec, s[10:11]
.LBB35_33:
	s_or_b64 exec, exec, s[6:7]
	v_cmp_eq_u32_e64 s[0:1], 63, v5
	v_cmp_lt_i32_e32 vcc, -1, v4
	s_and_b64 s[2:3], s[0:1], vcc
	s_and_saveexec_b64 s[6:7], s[2:3]
	s_cbranch_execz .LBB35_50
; %bb.34:
	v_mov_b32_e32 v5, 0
	v_lshlrev_b64 v[4:5], 3, v[4:5]
	v_mov_b32_e32 v3, s21
	v_add_co_u32_e32 v4, vcc, s20, v4
	v_addc_co_u32_e32 v5, vcc, v3, v5, vcc
	global_load_dwordx2 v[6:7], v[4:5], off
	s_load_dwordx2 s[2:3], s[4:5], 0x48
	v_add_u32_e32 v2, s33, v2
	s_waitcnt lgkmcnt(0)
	v_mul_f64 v[10:11], s[2:3], s[2:3]
	s_waitcnt vmcnt(0)
	v_pk_add_f32 v[6:7], v[6:7], v[8:9] op_sel:[1,0] op_sel_hi:[0,1] neg_lo:[0,1] neg_hi:[0,1]
	v_cvt_f64_f32_e32 v[8:9], v7
	v_cmp_eq_f32_e32 vcc, 0, v6
	v_cmp_ge_f64_e64 s[2:3], v[10:11], v[8:9]
	s_and_b64 s[4:5], s[2:3], vcc
	s_and_saveexec_b64 s[2:3], s[4:5]
	s_cbranch_execz .LBB35_39
; %bb.35:
	s_mov_b64 s[4:5], exec
	s_brev_b32 s10, -2
.LBB35_36:                              ; =>This Inner Loop Header: Depth=1
	s_ff1_i32_b64 s11, s[4:5]
	v_readlane_b32 s18, v2, s11
	s_lshl_b64 s[16:17], 1, s11
	s_min_i32 s10, s10, s18
	s_andn2_b64 s[4:5], s[4:5], s[16:17]
	s_cmp_lg_u64 s[4:5], 0
	s_cbranch_scc1 .LBB35_36
; %bb.37:
	v_mbcnt_lo_u32_b32 v3, exec_lo, 0
	v_mbcnt_hi_u32_b32 v3, exec_hi, v3
	v_cmp_eq_u32_e32 vcc, 0, v3
	s_and_saveexec_b64 s[4:5], vcc
	s_xor_b64 s[4:5], exec, s[4:5]
	s_cbranch_execz .LBB35_39
; %bb.38:
	v_mov_b32_e32 v3, 0
	v_mov_b32_e32 v8, s10
	global_atomic_smin v3, v8, s[14:15]
.LBB35_39:
	s_or_b64 exec, exec, s[2:3]
	v_cmp_gt_f32_e32 vcc, 0, v6
	v_cndmask_b32_e64 v3, v6, -v6, vcc
	v_cmp_gt_f32_e32 vcc, 0, v7
	v_cndmask_b32_e64 v7, v7, -v7, vcc
	v_cmp_ngt_f32_e32 vcc, v7, v3
                                        ; implicit-def: $vgpr8
	s_and_saveexec_b64 s[2:3], vcc
	s_xor_b64 s[4:5], exec, s[2:3]
	s_cbranch_execz .LBB35_43
; %bb.40:
	v_cmp_neq_f32_e32 vcc, 0, v6
	v_mov_b32_e32 v8, 0
	s_and_saveexec_b64 s[10:11], vcc
	s_cbranch_execz .LBB35_42
; %bb.41:
	v_div_scale_f32 v6, s[2:3], v3, v3, v7
	v_rcp_f32_e32 v8, v6
	v_div_scale_f32 v9, vcc, v7, v3, v7
	s_mov_b32 s2, 0xf800000
	v_fma_f32 v10, -v6, v8, 1.0
	v_fmac_f32_e32 v8, v10, v8
	v_mul_f32_e32 v10, v9, v8
	v_fma_f32 v11, -v6, v10, v9
	v_fmac_f32_e32 v10, v11, v8
	v_fma_f32 v6, -v6, v10, v9
	v_div_fmas_f32 v6, v6, v8, v10
	v_div_fixup_f32 v6, v6, v3, v7
	v_fma_f32 v6, v6, v6, 1.0
	v_mul_f32_e32 v7, 0x4f800000, v6
	v_cmp_gt_f32_e32 vcc, s2, v6
	v_cndmask_b32_e32 v6, v6, v7, vcc
	v_sqrt_f32_e32 v7, v6
	v_add_u32_e32 v8, -1, v7
	v_fma_f32 v9, -v8, v7, v6
	v_cmp_ge_f32_e64 s[2:3], 0, v9
	v_add_u32_e32 v9, 1, v7
	v_cndmask_b32_e64 v8, v7, v8, s[2:3]
	v_fma_f32 v7, -v9, v7, v6
	v_cmp_lt_f32_e64 s[2:3], 0, v7
	v_cndmask_b32_e64 v7, v8, v9, s[2:3]
	v_mul_f32_e32 v8, 0x37800000, v7
	v_cndmask_b32_e32 v7, v7, v8, vcc
	v_mov_b32_e32 v8, 0x260
	v_cmp_class_f32_e32 vcc, v6, v8
	v_cndmask_b32_e32 v6, v7, v6, vcc
	v_mul_f32_e32 v8, v3, v6
.LBB35_42:
	s_or_b64 exec, exec, s[10:11]
                                        ; implicit-def: $vgpr7
                                        ; implicit-def: $vgpr3
.LBB35_43:
	s_andn2_saveexec_b64 s[4:5], s[4:5]
	s_cbranch_execz .LBB35_45
; %bb.44:
	v_div_scale_f32 v6, s[2:3], v7, v7, v3
	v_rcp_f32_e32 v8, v6
	v_div_scale_f32 v9, vcc, v3, v7, v3
	s_mov_b32 s2, 0xf800000
	v_fma_f32 v10, -v6, v8, 1.0
	v_fmac_f32_e32 v8, v10, v8
	v_mul_f32_e32 v10, v9, v8
	v_fma_f32 v11, -v6, v10, v9
	v_fmac_f32_e32 v10, v11, v8
	v_fma_f32 v6, -v6, v10, v9
	v_div_fmas_f32 v6, v6, v8, v10
	v_div_fixup_f32 v3, v6, v7, v3
	v_fma_f32 v3, v3, v3, 1.0
	v_mul_f32_e32 v6, 0x4f800000, v3
	v_cmp_gt_f32_e32 vcc, s2, v3
	v_cndmask_b32_e32 v3, v3, v6, vcc
	v_sqrt_f32_e32 v6, v3
	v_add_u32_e32 v8, -1, v6
	v_fma_f32 v9, -v8, v6, v3
	v_cmp_ge_f32_e64 s[2:3], 0, v9
	v_add_u32_e32 v9, 1, v6
	v_cndmask_b32_e64 v8, v6, v8, s[2:3]
	v_fma_f32 v6, -v9, v6, v3
	v_cmp_lt_f32_e64 s[2:3], 0, v6
	v_cndmask_b32_e64 v6, v8, v9, s[2:3]
	v_mul_f32_e32 v8, 0x37800000, v6
	v_cndmask_b32_e32 v6, v6, v8, vcc
	v_mov_b32_e32 v8, 0x260
	v_cmp_class_f32_e32 vcc, v3, v8
	v_cndmask_b32_e32 v3, v6, v3, vcc
	v_mul_f32_e32 v8, v7, v3
.LBB35_45:
	s_or_b64 exec, exec, s[4:5]
	s_mov_b32 s2, 0xf800000
	v_mul_f32_e32 v3, 0x4f800000, v8
	v_cmp_gt_f32_e32 vcc, s2, v8
	v_cndmask_b32_e32 v3, v8, v3, vcc
	v_sqrt_f32_e32 v6, v3
	v_add_u32_e32 v7, -1, v6
	v_fma_f32 v8, -v7, v6, v3
	v_cmp_ge_f32_e64 s[2:3], 0, v8
	v_add_u32_e32 v8, 1, v6
	v_cndmask_b32_e64 v7, v6, v7, s[2:3]
	v_fma_f32 v6, -v8, v6, v3
	v_cmp_lt_f32_e64 s[2:3], 0, v6
	v_cndmask_b32_e64 v6, v7, v8, s[2:3]
	v_mul_f32_e32 v7, 0x37800000, v6
	v_cndmask_b32_e32 v6, v6, v7, vcc
	v_mov_b32_e32 v7, 0x260
	v_cmp_class_f32_e32 vcc, v3, v7
	v_cndmask_b32_e32 v6, v6, v3, vcc
	v_mov_b32_e32 v7, 0
	v_cmp_eq_f32_e32 vcc, 0, v6
	global_store_dwordx2 v[4:5], v[6:7], off
	s_and_b64 exec, exec, vcc
	s_cbranch_execz .LBB35_50
; %bb.46:
	s_mov_b64 s[2:3], exec
	s_brev_b32 s4, -2
.LBB35_47:                              ; =>This Inner Loop Header: Depth=1
	s_ff1_i32_b64 s5, s[2:3]
	v_readlane_b32 s14, v2, s5
	s_lshl_b64 s[10:11], 1, s5
	s_min_i32 s4, s4, s14
	s_andn2_b64 s[2:3], s[2:3], s[10:11]
	s_cmp_lg_u64 s[2:3], 0
	s_cbranch_scc1 .LBB35_47
; %bb.48:
	v_mbcnt_lo_u32_b32 v2, exec_lo, 0
	v_mbcnt_hi_u32_b32 v2, exec_hi, v2
	v_cmp_eq_u32_e32 vcc, 0, v2
	s_and_saveexec_b64 s[2:3], vcc
	s_xor_b64 s[2:3], exec, s[2:3]
	s_cbranch_execz .LBB35_50
; %bb.49:
	v_mov_b32_e32 v2, 0
	v_mov_b32_e32 v3, s4
	global_atomic_smin v2, v3, s[12:13]
.LBB35_50:
	s_or_b64 exec, exec, s[6:7]
	s_and_b64 exec, exec, s[0:1]
	s_cbranch_execz .LBB35_52
; %bb.51:
	v_mov_b32_e32 v2, s9
	v_add_co_u32_e32 v0, vcc, s8, v0
	v_addc_co_u32_e32 v1, vcc, v2, v1, vcc
	v_mov_b32_e32 v2, 1
	s_waitcnt vmcnt(0)
	global_store_dword v[0:1], v2, off
.LBB35_52:
	s_endpgm
	.section	.rodata,"a",@progbits
	.p2align	6, 0x0
	.amdhsa_kernel _ZN9rocsparseL18csric0_hash_kernelILj256ELj64ELj4E21rocsparse_complex_numIfEEEviPKiS4_PT2_S4_PiS4_S7_S7_d21rocsparse_index_base_
		.amdhsa_group_segment_fixed_size 8192
		.amdhsa_private_segment_fixed_size 0
		.amdhsa_kernarg_size 84
		.amdhsa_user_sgpr_count 6
		.amdhsa_user_sgpr_private_segment_buffer 1
		.amdhsa_user_sgpr_dispatch_ptr 0
		.amdhsa_user_sgpr_queue_ptr 0
		.amdhsa_user_sgpr_kernarg_segment_ptr 1
		.amdhsa_user_sgpr_dispatch_id 0
		.amdhsa_user_sgpr_flat_scratch_init 0
		.amdhsa_user_sgpr_kernarg_preload_length 0
		.amdhsa_user_sgpr_kernarg_preload_offset 0
		.amdhsa_user_sgpr_private_segment_size 0
		.amdhsa_uses_dynamic_stack 0
		.amdhsa_system_sgpr_private_segment_wavefront_offset 0
		.amdhsa_system_sgpr_workgroup_id_x 1
		.amdhsa_system_sgpr_workgroup_id_y 0
		.amdhsa_system_sgpr_workgroup_id_z 0
		.amdhsa_system_sgpr_workgroup_info 0
		.amdhsa_system_vgpr_workitem_id 0
		.amdhsa_next_free_vgpr 38
		.amdhsa_next_free_sgpr 44
		.amdhsa_accum_offset 40
		.amdhsa_reserve_vcc 1
		.amdhsa_reserve_flat_scratch 0
		.amdhsa_float_round_mode_32 0
		.amdhsa_float_round_mode_16_64 0
		.amdhsa_float_denorm_mode_32 3
		.amdhsa_float_denorm_mode_16_64 3
		.amdhsa_dx10_clamp 1
		.amdhsa_ieee_mode 1
		.amdhsa_fp16_overflow 0
		.amdhsa_tg_split 0
		.amdhsa_exception_fp_ieee_invalid_op 0
		.amdhsa_exception_fp_denorm_src 0
		.amdhsa_exception_fp_ieee_div_zero 0
		.amdhsa_exception_fp_ieee_overflow 0
		.amdhsa_exception_fp_ieee_underflow 0
		.amdhsa_exception_fp_ieee_inexact 0
		.amdhsa_exception_int_div_zero 0
	.end_amdhsa_kernel
	.section	.text._ZN9rocsparseL18csric0_hash_kernelILj256ELj64ELj4E21rocsparse_complex_numIfEEEviPKiS4_PT2_S4_PiS4_S7_S7_d21rocsparse_index_base_,"axG",@progbits,_ZN9rocsparseL18csric0_hash_kernelILj256ELj64ELj4E21rocsparse_complex_numIfEEEviPKiS4_PT2_S4_PiS4_S7_S7_d21rocsparse_index_base_,comdat
.Lfunc_end35:
	.size	_ZN9rocsparseL18csric0_hash_kernelILj256ELj64ELj4E21rocsparse_complex_numIfEEEviPKiS4_PT2_S4_PiS4_S7_S7_d21rocsparse_index_base_, .Lfunc_end35-_ZN9rocsparseL18csric0_hash_kernelILj256ELj64ELj4E21rocsparse_complex_numIfEEEviPKiS4_PT2_S4_PiS4_S7_S7_d21rocsparse_index_base_
                                        ; -- End function
	.section	.AMDGPU.csdata,"",@progbits
; Kernel info:
; codeLenInByte = 2568
; NumSgprs: 48
; NumVgprs: 38
; NumAgprs: 0
; TotalNumVgprs: 38
; ScratchSize: 0
; MemoryBound: 0
; FloatMode: 240
; IeeeMode: 1
; LDSByteSize: 8192 bytes/workgroup (compile time only)
; SGPRBlocks: 5
; VGPRBlocks: 4
; NumSGPRsForWavesPerEU: 48
; NumVGPRsForWavesPerEU: 38
; AccumOffset: 40
; Occupancy: 8
; WaveLimiterHint : 1
; COMPUTE_PGM_RSRC2:SCRATCH_EN: 0
; COMPUTE_PGM_RSRC2:USER_SGPR: 6
; COMPUTE_PGM_RSRC2:TRAP_HANDLER: 0
; COMPUTE_PGM_RSRC2:TGID_X_EN: 1
; COMPUTE_PGM_RSRC2:TGID_Y_EN: 0
; COMPUTE_PGM_RSRC2:TGID_Z_EN: 0
; COMPUTE_PGM_RSRC2:TIDIG_COMP_CNT: 0
; COMPUTE_PGM_RSRC3_GFX90A:ACCUM_OFFSET: 9
; COMPUTE_PGM_RSRC3_GFX90A:TG_SPLIT: 0
	.section	.text._ZN9rocsparseL18csric0_hash_kernelILj256ELj64ELj8E21rocsparse_complex_numIfEEEviPKiS4_PT2_S4_PiS4_S7_S7_d21rocsparse_index_base_,"axG",@progbits,_ZN9rocsparseL18csric0_hash_kernelILj256ELj64ELj8E21rocsparse_complex_numIfEEEviPKiS4_PT2_S4_PiS4_S7_S7_d21rocsparse_index_base_,comdat
	.globl	_ZN9rocsparseL18csric0_hash_kernelILj256ELj64ELj8E21rocsparse_complex_numIfEEEviPKiS4_PT2_S4_PiS4_S7_S7_d21rocsparse_index_base_ ; -- Begin function _ZN9rocsparseL18csric0_hash_kernelILj256ELj64ELj8E21rocsparse_complex_numIfEEEviPKiS4_PT2_S4_PiS4_S7_S7_d21rocsparse_index_base_
	.p2align	8
	.type	_ZN9rocsparseL18csric0_hash_kernelILj256ELj64ELj8E21rocsparse_complex_numIfEEEviPKiS4_PT2_S4_PiS4_S7_S7_d21rocsparse_index_base_,@function
_ZN9rocsparseL18csric0_hash_kernelILj256ELj64ELj8E21rocsparse_complex_numIfEEEviPKiS4_PT2_S4_PiS4_S7_S7_d21rocsparse_index_base_: ; @_ZN9rocsparseL18csric0_hash_kernelILj256ELj64ELj8E21rocsparse_complex_numIfEEEviPKiS4_PT2_S4_PiS4_S7_S7_d21rocsparse_index_base_
; %bb.0:
	s_load_dword s0, s[4:5], 0x0
	v_lshlrev_b32_e32 v1, 3, v0
	s_lshl_b32 s1, s6, 2
	v_and_b32_e32 v5, 63, v0
	v_and_b32_e32 v6, 0x600, v1
	v_mov_b32_e32 v1, 0x2000
	v_lshrrev_b32_e32 v0, 6, v0
	s_and_b32 s1, s1, 0x3fffffc
	v_lshl_or_b32 v22, v6, 2, v1
	v_or_b32_e32 v0, s1, v0
	v_lshl_or_b32 v1, v5, 2, v22
	v_mov_b32_e32 v2, -1
	s_waitcnt lgkmcnt(0)
	v_cmp_gt_i32_e32 vcc, s0, v0
	ds_write2st64_b32 v1, v2, v2 offset1:1
	ds_write2st64_b32 v1, v2, v2 offset0:2 offset1:3
	ds_write2st64_b32 v1, v2, v2 offset0:4 offset1:5
	;; [unrolled: 1-line block ×3, first 2 shown]
	s_waitcnt lgkmcnt(0)
	s_and_saveexec_b64 s[0:1], vcc
	s_cbranch_execz .LBB36_52
; %bb.1:
	s_load_dwordx8 s[8:15], s[4:5], 0x28
	v_lshlrev_b32_e32 v0, 2, v0
	s_load_dwordx8 s[16:23], s[4:5], 0x8
	s_load_dword s33, s[4:5], 0x50
	s_waitcnt lgkmcnt(0)
	global_load_dword v2, v0, s[10:11]
	v_mov_b32_e32 v7, s17
	v_mov_b32_e32 v4, s23
	s_waitcnt vmcnt(0)
	v_ashrrev_i32_e32 v3, 31, v2
	v_lshlrev_b64 v[0:1], 2, v[2:3]
	v_add_co_u32_e32 v8, vcc, s16, v0
	v_addc_co_u32_e32 v9, vcc, v7, v1, vcc
	global_load_dwordx2 v[8:9], v[8:9], off
	v_add_co_u32_e32 v10, vcc, s22, v0
	v_addc_co_u32_e32 v11, vcc, v4, v1, vcc
	global_load_dword v4, v[10:11], off
	v_lshlrev_b32_e32 v3, 2, v6
	s_waitcnt vmcnt(1)
	v_subrev_u32_e32 v6, s33, v8
	v_subrev_u32_e32 v7, s33, v9
	v_add_u32_e32 v8, v6, v5
	v_cmp_lt_i32_e32 vcc, v8, v7
	s_and_saveexec_b64 s[0:1], vcc
	s_cbranch_execz .LBB36_11
; %bb.2:
	s_mov_b64 s[2:3], 0
	v_mov_b32_e32 v10, s19
	s_movk_i32 s34, 0x67
	v_mov_b32_e32 v11, -1
	s_branch .LBB36_4
.LBB36_3:                               ;   in Loop: Header=BB36_4 Depth=1
	s_or_b64 exec, exec, s[6:7]
	v_add_u32_e32 v8, 64, v8
	v_cmp_ge_i32_e32 vcc, v8, v7
	s_or_b64 s[2:3], vcc, s[2:3]
	s_andn2_b64 exec, exec, s[2:3]
	s_cbranch_execz .LBB36_11
.LBB36_4:                               ; =>This Loop Header: Depth=1
                                        ;     Child Loop BB36_7 Depth 2
	v_ashrrev_i32_e32 v9, 31, v8
	v_lshlrev_b64 v[12:13], 2, v[8:9]
	v_add_co_u32_e32 v12, vcc, s18, v12
	v_addc_co_u32_e32 v13, vcc, v10, v13, vcc
	global_load_dword v9, v[12:13], off
	s_waitcnt vmcnt(0)
	v_mul_lo_u32 v12, v9, s34
	v_and_b32_e32 v12, 0x1ff, v12
	v_lshl_add_u32 v13, v12, 2, v22
	ds_read_b32 v14, v13
	s_waitcnt lgkmcnt(0)
	v_cmp_ne_u32_e32 vcc, v14, v9
	s_and_saveexec_b64 s[6:7], vcc
	s_cbranch_execz .LBB36_3
; %bb.5:                                ;   in Loop: Header=BB36_4 Depth=1
	s_mov_b64 s[10:11], 0
                                        ; implicit-def: $sgpr24_sgpr25
                                        ; implicit-def: $sgpr28_sgpr29
                                        ; implicit-def: $sgpr26_sgpr27
	s_branch .LBB36_7
.LBB36_6:                               ;   in Loop: Header=BB36_7 Depth=2
	s_or_b64 exec, exec, s[30:31]
	s_and_b64 s[30:31], exec, s[28:29]
	s_or_b64 s[10:11], s[30:31], s[10:11]
	s_andn2_b64 s[24:25], s[24:25], exec
	s_and_b64 s[30:31], s[26:27], exec
	s_or_b64 s[24:25], s[24:25], s[30:31]
	s_andn2_b64 exec, exec, s[10:11]
	s_cbranch_execz .LBB36_9
.LBB36_7:                               ;   Parent Loop BB36_4 Depth=1
                                        ; =>  This Inner Loop Header: Depth=2
	ds_cmpst_rtn_b32 v13, v13, v11, v9
	v_mov_b32_e32 v14, v12
	s_or_b64 s[26:27], s[26:27], exec
	s_or_b64 s[28:29], s[28:29], exec
                                        ; implicit-def: $vgpr12
	s_waitcnt lgkmcnt(0)
	v_cmp_ne_u32_e32 vcc, -1, v13
                                        ; implicit-def: $vgpr13
	s_and_saveexec_b64 s[30:31], vcc
	s_cbranch_execz .LBB36_6
; %bb.8:                                ;   in Loop: Header=BB36_7 Depth=2
	v_add_u32_e32 v12, 1, v14
	v_and_b32_e32 v12, 0x1ff, v12
	v_lshl_add_u32 v13, v12, 2, v22
	ds_read_b32 v15, v13
	s_andn2_b64 s[28:29], s[28:29], exec
	s_andn2_b64 s[26:27], s[26:27], exec
	s_waitcnt lgkmcnt(0)
	v_cmp_eq_u32_e32 vcc, v15, v9
	s_and_b64 s[36:37], vcc, exec
	s_or_b64 s[28:29], s[28:29], s[36:37]
	s_branch .LBB36_6
.LBB36_9:                               ;   in Loop: Header=BB36_4 Depth=1
	s_or_b64 exec, exec, s[10:11]
	s_and_saveexec_b64 s[10:11], s[24:25]
	s_xor_b64 s[10:11], exec, s[10:11]
	s_cbranch_execz .LBB36_3
; %bb.10:                               ;   in Loop: Header=BB36_4 Depth=1
	v_lshl_add_u32 v9, v14, 2, v3
	ds_write_b32 v9, v8
	s_branch .LBB36_3
.LBB36_11:
	s_or_b64 exec, exec, s[0:1]
	v_mov_b32_e32 v9, 0
	s_waitcnt vmcnt(0)
	v_cmp_lt_i32_e32 vcc, v6, v4
	v_mov_b32_e32 v8, v9
	s_waitcnt lgkmcnt(0)
	s_and_saveexec_b64 s[6:7], vcc
	s_cbranch_execz .LBB36_33
; %bb.12:
	v_mov_b32_e32 v8, 0
	v_add_u32_e32 v23, -1, v4
	v_subrev_u32_e32 v24, s33, v5
	v_cmp_eq_u32_e64 s[0:1], 63, v5
	s_mov_b64 s[10:11], 0
	v_mov_b32_e32 v25, s19
	v_mov_b32_e32 v26, s21
	;; [unrolled: 1-line block ×5, first 2 shown]
	s_movk_i32 s17, 0x67
	v_mov_b32_e32 v9, v8
	s_branch .LBB36_15
.LBB36_13:                              ;   in Loop: Header=BB36_15 Depth=1
	s_or_b64 exec, exec, s[24:25]
	v_add_u32_e32 v6, 1, v6
	v_cmp_ge_i32_e32 vcc, v6, v4
	s_orn2_b64 s[24:25], vcc, exec
.LBB36_14:                              ;   in Loop: Header=BB36_15 Depth=1
	s_or_b64 exec, exec, s[2:3]
	s_and_b64 s[2:3], exec, s[24:25]
	s_or_b64 s[10:11], s[2:3], s[10:11]
	s_andn2_b64 exec, exec, s[10:11]
	s_cbranch_execz .LBB36_32
.LBB36_15:                              ; =>This Loop Header: Depth=1
                                        ;     Child Loop BB36_16 Depth 2
                                        ;     Child Loop BB36_22 Depth 2
                                        ;       Child Loop BB36_25 Depth 3
	v_ashrrev_i32_e32 v7, 31, v6
	v_lshlrev_b64 v[10:11], 2, v[6:7]
	v_add_co_u32_e32 v10, vcc, s18, v10
	v_addc_co_u32_e32 v11, vcc, v25, v11, vcc
	global_load_dword v14, v[10:11], off
	v_lshlrev_b64 v[10:11], 3, v[6:7]
	v_add_co_u32_e32 v10, vcc, s20, v10
	v_addc_co_u32_e32 v11, vcc, v26, v11, vcc
	global_load_dwordx2 v[12:13], v[10:11], off
	s_mov_b64 s[2:3], 0
	s_waitcnt vmcnt(1)
	v_subrev_u32_e32 v14, s33, v14
	v_ashrrev_i32_e32 v15, 31, v14
	v_lshlrev_b64 v[14:15], 2, v[14:15]
	v_add_co_u32_e32 v18, vcc, s16, v14
	v_addc_co_u32_e32 v19, vcc, v27, v15, vcc
	v_add_co_u32_e32 v20, vcc, s22, v14
	v_addc_co_u32_e32 v21, vcc, v28, v15, vcc
	global_load_dword v7, v[18:19], off
	global_load_dword v16, v[20:21], off
	v_add_co_u32_e32 v14, vcc, s8, v14
	v_addc_co_u32_e32 v15, vcc, v29, v15, vcc
.LBB36_16:                              ;   Parent Loop BB36_15 Depth=1
                                        ; =>  This Inner Loop Header: Depth=2
	global_load_dword v17, v[14:15], off glc
	s_waitcnt vmcnt(0)
	v_cmp_ne_u32_e32 vcc, 0, v17
	s_or_b64 s[2:3], vcc, s[2:3]
	s_andn2_b64 exec, exec, s[2:3]
	s_cbranch_execnz .LBB36_16
; %bb.17:                               ;   in Loop: Header=BB36_15 Depth=1
	s_or_b64 exec, exec, s[2:3]
	v_cmp_eq_u32_e32 vcc, -1, v16
	v_cndmask_b32_e32 v16, v16, v23, vcc
	v_ashrrev_i32_e32 v17, 31, v16
	v_lshlrev_b64 v[14:15], 3, v[16:17]
	v_add_co_u32_e32 v14, vcc, s20, v14
	v_addc_co_u32_e32 v15, vcc, v26, v15, vcc
	buffer_wbinvl1_vol
	global_load_dwordx2 v[14:15], v[14:15], off
	s_mov_b64 s[24:25], -1
	s_waitcnt vmcnt(0)
	v_cmp_neq_f32_e32 vcc, 0, v14
	v_cmp_neq_f32_e64 s[2:3], 0, v15
	s_or_b64 s[26:27], vcc, s[2:3]
	s_and_saveexec_b64 s[2:3], s[26:27]
	s_cbranch_execz .LBB36_14
; %bb.18:                               ;   in Loop: Header=BB36_15 Depth=1
	v_add_u32_e32 v20, v24, v7
	v_mov_b32_e32 v19, 0
	v_cmp_lt_i32_e32 vcc, v20, v16
	v_mov_b32_e32 v18, v19
	s_and_saveexec_b64 s[24:25], vcc
	s_cbranch_execz .LBB36_30
; %bb.19:                               ;   in Loop: Header=BB36_15 Depth=1
	v_mov_b32_e32 v18, 0
	s_mov_b64 s[26:27], 0
	v_mov_b32_e32 v19, v18
	s_branch .LBB36_22
.LBB36_20:                              ;   in Loop: Header=BB36_22 Depth=2
	s_or_b64 exec, exec, s[30:31]
.LBB36_21:                              ;   in Loop: Header=BB36_22 Depth=2
	s_or_b64 exec, exec, s[28:29]
	v_add_u32_e32 v20, 64, v20
	v_cmp_ge_i32_e32 vcc, v20, v16
	s_or_b64 s[26:27], vcc, s[26:27]
	s_andn2_b64 exec, exec, s[26:27]
	s_cbranch_execz .LBB36_29
.LBB36_22:                              ;   Parent Loop BB36_15 Depth=1
                                        ; =>  This Loop Header: Depth=2
                                        ;       Child Loop BB36_25 Depth 3
	v_ashrrev_i32_e32 v21, 31, v20
	v_lshlrev_b64 v[30:31], 2, v[20:21]
	v_add_co_u32_e32 v30, vcc, s18, v30
	v_addc_co_u32_e32 v31, vcc, v25, v31, vcc
	global_load_dword v7, v[30:31], off
	s_waitcnt vmcnt(0)
	v_mul_lo_u32 v17, v7, s17
	v_and_b32_e32 v31, 0x1ff, v17
	v_lshl_add_u32 v17, v31, 2, v22
	ds_read_b32 v30, v17
	s_waitcnt lgkmcnt(0)
	v_cmp_ne_u32_e32 vcc, -1, v30
	s_and_saveexec_b64 s[28:29], vcc
	s_cbranch_execz .LBB36_21
; %bb.23:                               ;   in Loop: Header=BB36_22 Depth=2
	s_mov_b64 s[34:35], 0
                                        ; implicit-def: $sgpr30_sgpr31
                                        ; implicit-def: $sgpr38_sgpr39
                                        ; implicit-def: $sgpr36_sgpr37
	s_branch .LBB36_25
.LBB36_24:                              ;   in Loop: Header=BB36_25 Depth=3
	s_or_b64 exec, exec, s[40:41]
	s_and_b64 s[40:41], exec, s[38:39]
	s_or_b64 s[34:35], s[40:41], s[34:35]
	s_andn2_b64 s[30:31], s[30:31], exec
	s_and_b64 s[40:41], s[36:37], exec
	s_or_b64 s[30:31], s[30:31], s[40:41]
	s_andn2_b64 exec, exec, s[34:35]
	s_cbranch_execz .LBB36_27
.LBB36_25:                              ;   Parent Loop BB36_15 Depth=1
                                        ;     Parent Loop BB36_22 Depth=2
                                        ; =>    This Inner Loop Header: Depth=3
	v_mov_b32_e32 v17, v31
	v_cmp_ne_u32_e32 vcc, v30, v7
	s_or_b64 s[36:37], s[36:37], exec
	s_or_b64 s[38:39], s[38:39], exec
                                        ; implicit-def: $vgpr31
                                        ; implicit-def: $vgpr30
	s_and_saveexec_b64 s[40:41], vcc
	s_cbranch_execz .LBB36_24
; %bb.26:                               ;   in Loop: Header=BB36_25 Depth=3
	v_add_u32_e32 v30, 1, v17
	v_and_b32_e32 v31, 0x1ff, v30
	v_lshl_add_u32 v30, v31, 2, v22
	ds_read_b32 v30, v30
	s_andn2_b64 s[38:39], s[38:39], exec
	s_andn2_b64 s[36:37], s[36:37], exec
	s_waitcnt lgkmcnt(0)
	v_cmp_eq_u32_e32 vcc, -1, v30
	s_and_b64 s[42:43], vcc, exec
	s_or_b64 s[38:39], s[38:39], s[42:43]
	s_branch .LBB36_24
.LBB36_27:                              ;   in Loop: Header=BB36_22 Depth=2
	s_or_b64 exec, exec, s[34:35]
	s_and_saveexec_b64 s[34:35], s[30:31]
	s_xor_b64 s[30:31], exec, s[34:35]
	s_cbranch_execz .LBB36_20
; %bb.28:                               ;   in Loop: Header=BB36_22 Depth=2
	v_lshl_add_u32 v7, v17, 2, v3
	ds_read_b32 v30, v7
	v_lshlrev_b64 v[32:33], 3, v[20:21]
	v_add_co_u32_e32 v32, vcc, s20, v32
	v_addc_co_u32_e32 v33, vcc, v26, v33, vcc
	s_waitcnt lgkmcnt(0)
	v_ashrrev_i32_e32 v31, 31, v30
	v_lshlrev_b64 v[30:31], 3, v[30:31]
	v_add_co_u32_e32 v30, vcc, s20, v30
	v_addc_co_u32_e32 v31, vcc, v26, v31, vcc
	global_load_dwordx2 v[34:35], v[30:31], off
	global_load_dwordx2 v[36:37], v[32:33], off
	s_waitcnt vmcnt(0)
	v_pk_fma_f32 v[18:19], v[36:37], v[34:35], v[18:19] op_sel:[1,0,0] op_sel_hi:[0,0,1]
	v_pk_fma_f32 v[18:19], v[36:37], v[34:35], v[18:19] op_sel:[0,1,0] neg_lo:[0,1,0]
	s_branch .LBB36_20
.LBB36_29:                              ;   in Loop: Header=BB36_15 Depth=1
	s_or_b64 exec, exec, s[26:27]
.LBB36_30:                              ;   in Loop: Header=BB36_15 Depth=1
	s_or_b64 exec, exec, s[24:25]
	v_mov_b32_e32 v16, v19
	v_mov_b32_e32 v17, v18
	v_mov_b32_dpp v20, v19 row_shr:1 row_mask:0xf bank_mask:0xf
	v_mov_b32_dpp v21, v18 row_shr:1 row_mask:0xf bank_mask:0xf
	v_pk_add_f32 v[16:17], v[16:17], v[20:21]
	s_nop 1
	v_mov_b32_dpp v18, v16 row_shr:2 row_mask:0xf bank_mask:0xf
	v_mov_b32_dpp v19, v17 row_shr:2 row_mask:0xf bank_mask:0xf
	v_pk_add_f32 v[16:17], v[16:17], v[18:19]
	s_nop 1
	;; [unrolled: 4-line block ×4, first 2 shown]
	v_mov_b32_dpp v18, v16 row_bcast:15 row_mask:0xa bank_mask:0xf
	v_mov_b32_dpp v19, v17 row_bcast:15 row_mask:0xa bank_mask:0xf
	v_pk_add_f32 v[16:17], v[16:17], v[18:19]
	s_nop 1
	v_mov_b32_dpp v18, v16 row_bcast:31 row_mask:0xc bank_mask:0xf
	v_mov_b32_dpp v19, v17 row_bcast:31 row_mask:0xc bank_mask:0xf
	s_and_saveexec_b64 s[24:25], s[0:1]
	s_cbranch_execz .LBB36_13
; %bb.31:                               ;   in Loop: Header=BB36_15 Depth=1
	v_mul_f32_e32 v7, v15, v15
	v_fmac_f32_e32 v7, v14, v14
	v_div_scale_f32 v20, s[26:27], v7, v7, 1.0
	v_rcp_f32_e32 v21, v20
	v_div_scale_f32 v30, vcc, 1.0, v7, 1.0
	v_pk_add_f32 v[16:17], v[16:17], v[18:19]
	v_fma_f32 v31, -v20, v21, 1.0
	v_fmac_f32_e32 v21, v31, v21
	v_mul_f32_e32 v31, v30, v21
	v_fma_f32 v32, -v20, v31, v30
	v_fmac_f32_e32 v31, v32, v21
	v_fma_f32 v20, -v20, v31, v30
	v_div_fmas_f32 v20, v20, v21, v31
	v_div_fixup_f32 v7, v20, v7, 1.0
	v_fma_f32 v20, 0, v15, v14
	v_fma_f32 v14, v14, 0, -v15
	v_mul_f32_e32 v14, v14, v7
	v_pk_add_f32 v[12:13], v[12:13], v[16:17] neg_lo:[0,1] neg_hi:[0,1]
	v_mul_f32_e32 v20, v20, v7
	v_pk_mul_f32 v[14:15], v[14:15], v[12:13] op_sel:[0,1] op_sel_hi:[0,0] neg_lo:[0,1]
	v_pk_fma_f32 v[12:13], v[12:13], v[20:21], v[14:15] op_sel_hi:[1,0,1]
	v_xor_b32_e32 v14, 0x80000000, v13
	v_pk_fma_f32 v[8:9], v[12:13], v[12:13], v[8:9] op_sel:[1,0,0] op_sel_hi:[0,0,1]
	v_mov_b32_e32 v15, v13
	v_pk_fma_f32 v[8:9], v[12:13], v[14:15], v[8:9]
	global_store_dwordx2 v[10:11], v[12:13], off
	s_branch .LBB36_13
.LBB36_32:
	s_or_b64 exec, exec, s[10:11]
.LBB36_33:
	s_or_b64 exec, exec, s[6:7]
	v_cmp_eq_u32_e64 s[0:1], 63, v5
	v_cmp_lt_i32_e32 vcc, -1, v4
	s_and_b64 s[2:3], s[0:1], vcc
	s_and_saveexec_b64 s[6:7], s[2:3]
	s_cbranch_execz .LBB36_50
; %bb.34:
	v_mov_b32_e32 v5, 0
	v_lshlrev_b64 v[4:5], 3, v[4:5]
	v_mov_b32_e32 v3, s21
	v_add_co_u32_e32 v4, vcc, s20, v4
	v_addc_co_u32_e32 v5, vcc, v3, v5, vcc
	global_load_dwordx2 v[6:7], v[4:5], off
	s_load_dwordx2 s[2:3], s[4:5], 0x48
	v_add_u32_e32 v2, s33, v2
	s_waitcnt lgkmcnt(0)
	v_mul_f64 v[10:11], s[2:3], s[2:3]
	s_waitcnt vmcnt(0)
	v_pk_add_f32 v[6:7], v[6:7], v[8:9] op_sel:[1,0] op_sel_hi:[0,1] neg_lo:[0,1] neg_hi:[0,1]
	v_cvt_f64_f32_e32 v[8:9], v7
	v_cmp_eq_f32_e32 vcc, 0, v6
	v_cmp_ge_f64_e64 s[2:3], v[10:11], v[8:9]
	s_and_b64 s[4:5], s[2:3], vcc
	s_and_saveexec_b64 s[2:3], s[4:5]
	s_cbranch_execz .LBB36_39
; %bb.35:
	s_mov_b64 s[4:5], exec
	s_brev_b32 s10, -2
.LBB36_36:                              ; =>This Inner Loop Header: Depth=1
	s_ff1_i32_b64 s11, s[4:5]
	v_readlane_b32 s18, v2, s11
	s_lshl_b64 s[16:17], 1, s11
	s_min_i32 s10, s10, s18
	s_andn2_b64 s[4:5], s[4:5], s[16:17]
	s_cmp_lg_u64 s[4:5], 0
	s_cbranch_scc1 .LBB36_36
; %bb.37:
	v_mbcnt_lo_u32_b32 v3, exec_lo, 0
	v_mbcnt_hi_u32_b32 v3, exec_hi, v3
	v_cmp_eq_u32_e32 vcc, 0, v3
	s_and_saveexec_b64 s[4:5], vcc
	s_xor_b64 s[4:5], exec, s[4:5]
	s_cbranch_execz .LBB36_39
; %bb.38:
	v_mov_b32_e32 v3, 0
	v_mov_b32_e32 v8, s10
	global_atomic_smin v3, v8, s[14:15]
.LBB36_39:
	s_or_b64 exec, exec, s[2:3]
	v_cmp_gt_f32_e32 vcc, 0, v6
	v_cndmask_b32_e64 v3, v6, -v6, vcc
	v_cmp_gt_f32_e32 vcc, 0, v7
	v_cndmask_b32_e64 v7, v7, -v7, vcc
	v_cmp_ngt_f32_e32 vcc, v7, v3
                                        ; implicit-def: $vgpr8
	s_and_saveexec_b64 s[2:3], vcc
	s_xor_b64 s[4:5], exec, s[2:3]
	s_cbranch_execz .LBB36_43
; %bb.40:
	v_cmp_neq_f32_e32 vcc, 0, v6
	v_mov_b32_e32 v8, 0
	s_and_saveexec_b64 s[10:11], vcc
	s_cbranch_execz .LBB36_42
; %bb.41:
	v_div_scale_f32 v6, s[2:3], v3, v3, v7
	v_rcp_f32_e32 v8, v6
	v_div_scale_f32 v9, vcc, v7, v3, v7
	s_mov_b32 s2, 0xf800000
	v_fma_f32 v10, -v6, v8, 1.0
	v_fmac_f32_e32 v8, v10, v8
	v_mul_f32_e32 v10, v9, v8
	v_fma_f32 v11, -v6, v10, v9
	v_fmac_f32_e32 v10, v11, v8
	v_fma_f32 v6, -v6, v10, v9
	v_div_fmas_f32 v6, v6, v8, v10
	v_div_fixup_f32 v6, v6, v3, v7
	v_fma_f32 v6, v6, v6, 1.0
	v_mul_f32_e32 v7, 0x4f800000, v6
	v_cmp_gt_f32_e32 vcc, s2, v6
	v_cndmask_b32_e32 v6, v6, v7, vcc
	v_sqrt_f32_e32 v7, v6
	v_add_u32_e32 v8, -1, v7
	v_fma_f32 v9, -v8, v7, v6
	v_cmp_ge_f32_e64 s[2:3], 0, v9
	v_add_u32_e32 v9, 1, v7
	v_cndmask_b32_e64 v8, v7, v8, s[2:3]
	v_fma_f32 v7, -v9, v7, v6
	v_cmp_lt_f32_e64 s[2:3], 0, v7
	v_cndmask_b32_e64 v7, v8, v9, s[2:3]
	v_mul_f32_e32 v8, 0x37800000, v7
	v_cndmask_b32_e32 v7, v7, v8, vcc
	v_mov_b32_e32 v8, 0x260
	v_cmp_class_f32_e32 vcc, v6, v8
	v_cndmask_b32_e32 v6, v7, v6, vcc
	v_mul_f32_e32 v8, v3, v6
.LBB36_42:
	s_or_b64 exec, exec, s[10:11]
                                        ; implicit-def: $vgpr7
                                        ; implicit-def: $vgpr3
.LBB36_43:
	s_andn2_saveexec_b64 s[4:5], s[4:5]
	s_cbranch_execz .LBB36_45
; %bb.44:
	v_div_scale_f32 v6, s[2:3], v7, v7, v3
	v_rcp_f32_e32 v8, v6
	v_div_scale_f32 v9, vcc, v3, v7, v3
	s_mov_b32 s2, 0xf800000
	v_fma_f32 v10, -v6, v8, 1.0
	v_fmac_f32_e32 v8, v10, v8
	v_mul_f32_e32 v10, v9, v8
	v_fma_f32 v11, -v6, v10, v9
	v_fmac_f32_e32 v10, v11, v8
	v_fma_f32 v6, -v6, v10, v9
	v_div_fmas_f32 v6, v6, v8, v10
	v_div_fixup_f32 v3, v6, v7, v3
	v_fma_f32 v3, v3, v3, 1.0
	v_mul_f32_e32 v6, 0x4f800000, v3
	v_cmp_gt_f32_e32 vcc, s2, v3
	v_cndmask_b32_e32 v3, v3, v6, vcc
	v_sqrt_f32_e32 v6, v3
	v_add_u32_e32 v8, -1, v6
	v_fma_f32 v9, -v8, v6, v3
	v_cmp_ge_f32_e64 s[2:3], 0, v9
	v_add_u32_e32 v9, 1, v6
	v_cndmask_b32_e64 v8, v6, v8, s[2:3]
	v_fma_f32 v6, -v9, v6, v3
	v_cmp_lt_f32_e64 s[2:3], 0, v6
	v_cndmask_b32_e64 v6, v8, v9, s[2:3]
	v_mul_f32_e32 v8, 0x37800000, v6
	v_cndmask_b32_e32 v6, v6, v8, vcc
	v_mov_b32_e32 v8, 0x260
	v_cmp_class_f32_e32 vcc, v3, v8
	v_cndmask_b32_e32 v3, v6, v3, vcc
	v_mul_f32_e32 v8, v7, v3
.LBB36_45:
	s_or_b64 exec, exec, s[4:5]
	s_mov_b32 s2, 0xf800000
	v_mul_f32_e32 v3, 0x4f800000, v8
	v_cmp_gt_f32_e32 vcc, s2, v8
	v_cndmask_b32_e32 v3, v8, v3, vcc
	v_sqrt_f32_e32 v6, v3
	v_add_u32_e32 v7, -1, v6
	v_fma_f32 v8, -v7, v6, v3
	v_cmp_ge_f32_e64 s[2:3], 0, v8
	v_add_u32_e32 v8, 1, v6
	v_cndmask_b32_e64 v7, v6, v7, s[2:3]
	v_fma_f32 v6, -v8, v6, v3
	v_cmp_lt_f32_e64 s[2:3], 0, v6
	v_cndmask_b32_e64 v6, v7, v8, s[2:3]
	v_mul_f32_e32 v7, 0x37800000, v6
	v_cndmask_b32_e32 v6, v6, v7, vcc
	v_mov_b32_e32 v7, 0x260
	v_cmp_class_f32_e32 vcc, v3, v7
	v_cndmask_b32_e32 v6, v6, v3, vcc
	v_mov_b32_e32 v7, 0
	v_cmp_eq_f32_e32 vcc, 0, v6
	global_store_dwordx2 v[4:5], v[6:7], off
	s_and_b64 exec, exec, vcc
	s_cbranch_execz .LBB36_50
; %bb.46:
	s_mov_b64 s[2:3], exec
	s_brev_b32 s4, -2
.LBB36_47:                              ; =>This Inner Loop Header: Depth=1
	s_ff1_i32_b64 s5, s[2:3]
	v_readlane_b32 s14, v2, s5
	s_lshl_b64 s[10:11], 1, s5
	s_min_i32 s4, s4, s14
	s_andn2_b64 s[2:3], s[2:3], s[10:11]
	s_cmp_lg_u64 s[2:3], 0
	s_cbranch_scc1 .LBB36_47
; %bb.48:
	v_mbcnt_lo_u32_b32 v2, exec_lo, 0
	v_mbcnt_hi_u32_b32 v2, exec_hi, v2
	v_cmp_eq_u32_e32 vcc, 0, v2
	s_and_saveexec_b64 s[2:3], vcc
	s_xor_b64 s[2:3], exec, s[2:3]
	s_cbranch_execz .LBB36_50
; %bb.49:
	v_mov_b32_e32 v2, 0
	v_mov_b32_e32 v3, s4
	global_atomic_smin v2, v3, s[12:13]
.LBB36_50:
	s_or_b64 exec, exec, s[6:7]
	s_and_b64 exec, exec, s[0:1]
	s_cbranch_execz .LBB36_52
; %bb.51:
	v_mov_b32_e32 v2, s9
	v_add_co_u32_e32 v0, vcc, s8, v0
	v_addc_co_u32_e32 v1, vcc, v2, v1, vcc
	v_mov_b32_e32 v2, 1
	s_waitcnt vmcnt(0)
	global_store_dword v[0:1], v2, off
.LBB36_52:
	s_endpgm
	.section	.rodata,"a",@progbits
	.p2align	6, 0x0
	.amdhsa_kernel _ZN9rocsparseL18csric0_hash_kernelILj256ELj64ELj8E21rocsparse_complex_numIfEEEviPKiS4_PT2_S4_PiS4_S7_S7_d21rocsparse_index_base_
		.amdhsa_group_segment_fixed_size 16384
		.amdhsa_private_segment_fixed_size 0
		.amdhsa_kernarg_size 84
		.amdhsa_user_sgpr_count 6
		.amdhsa_user_sgpr_private_segment_buffer 1
		.amdhsa_user_sgpr_dispatch_ptr 0
		.amdhsa_user_sgpr_queue_ptr 0
		.amdhsa_user_sgpr_kernarg_segment_ptr 1
		.amdhsa_user_sgpr_dispatch_id 0
		.amdhsa_user_sgpr_flat_scratch_init 0
		.amdhsa_user_sgpr_kernarg_preload_length 0
		.amdhsa_user_sgpr_kernarg_preload_offset 0
		.amdhsa_user_sgpr_private_segment_size 0
		.amdhsa_uses_dynamic_stack 0
		.amdhsa_system_sgpr_private_segment_wavefront_offset 0
		.amdhsa_system_sgpr_workgroup_id_x 1
		.amdhsa_system_sgpr_workgroup_id_y 0
		.amdhsa_system_sgpr_workgroup_id_z 0
		.amdhsa_system_sgpr_workgroup_info 0
		.amdhsa_system_vgpr_workitem_id 0
		.amdhsa_next_free_vgpr 38
		.amdhsa_next_free_sgpr 44
		.amdhsa_accum_offset 40
		.amdhsa_reserve_vcc 1
		.amdhsa_reserve_flat_scratch 0
		.amdhsa_float_round_mode_32 0
		.amdhsa_float_round_mode_16_64 0
		.amdhsa_float_denorm_mode_32 3
		.amdhsa_float_denorm_mode_16_64 3
		.amdhsa_dx10_clamp 1
		.amdhsa_ieee_mode 1
		.amdhsa_fp16_overflow 0
		.amdhsa_tg_split 0
		.amdhsa_exception_fp_ieee_invalid_op 0
		.amdhsa_exception_fp_denorm_src 0
		.amdhsa_exception_fp_ieee_div_zero 0
		.amdhsa_exception_fp_ieee_overflow 0
		.amdhsa_exception_fp_ieee_underflow 0
		.amdhsa_exception_fp_ieee_inexact 0
		.amdhsa_exception_int_div_zero 0
	.end_amdhsa_kernel
	.section	.text._ZN9rocsparseL18csric0_hash_kernelILj256ELj64ELj8E21rocsparse_complex_numIfEEEviPKiS4_PT2_S4_PiS4_S7_S7_d21rocsparse_index_base_,"axG",@progbits,_ZN9rocsparseL18csric0_hash_kernelILj256ELj64ELj8E21rocsparse_complex_numIfEEEviPKiS4_PT2_S4_PiS4_S7_S7_d21rocsparse_index_base_,comdat
.Lfunc_end36:
	.size	_ZN9rocsparseL18csric0_hash_kernelILj256ELj64ELj8E21rocsparse_complex_numIfEEEviPKiS4_PT2_S4_PiS4_S7_S7_d21rocsparse_index_base_, .Lfunc_end36-_ZN9rocsparseL18csric0_hash_kernelILj256ELj64ELj8E21rocsparse_complex_numIfEEEviPKiS4_PT2_S4_PiS4_S7_S7_d21rocsparse_index_base_
                                        ; -- End function
	.section	.AMDGPU.csdata,"",@progbits
; Kernel info:
; codeLenInByte = 2580
; NumSgprs: 48
; NumVgprs: 38
; NumAgprs: 0
; TotalNumVgprs: 38
; ScratchSize: 0
; MemoryBound: 0
; FloatMode: 240
; IeeeMode: 1
; LDSByteSize: 16384 bytes/workgroup (compile time only)
; SGPRBlocks: 5
; VGPRBlocks: 4
; NumSGPRsForWavesPerEU: 48
; NumVGPRsForWavesPerEU: 38
; AccumOffset: 40
; Occupancy: 4
; WaveLimiterHint : 1
; COMPUTE_PGM_RSRC2:SCRATCH_EN: 0
; COMPUTE_PGM_RSRC2:USER_SGPR: 6
; COMPUTE_PGM_RSRC2:TRAP_HANDLER: 0
; COMPUTE_PGM_RSRC2:TGID_X_EN: 1
; COMPUTE_PGM_RSRC2:TGID_Y_EN: 0
; COMPUTE_PGM_RSRC2:TGID_Z_EN: 0
; COMPUTE_PGM_RSRC2:TIDIG_COMP_CNT: 0
; COMPUTE_PGM_RSRC3_GFX90A:ACCUM_OFFSET: 9
; COMPUTE_PGM_RSRC3_GFX90A:TG_SPLIT: 0
	.section	.text._ZN9rocsparseL18csric0_hash_kernelILj256ELj64ELj16E21rocsparse_complex_numIfEEEviPKiS4_PT2_S4_PiS4_S7_S7_d21rocsparse_index_base_,"axG",@progbits,_ZN9rocsparseL18csric0_hash_kernelILj256ELj64ELj16E21rocsparse_complex_numIfEEEviPKiS4_PT2_S4_PiS4_S7_S7_d21rocsparse_index_base_,comdat
	.globl	_ZN9rocsparseL18csric0_hash_kernelILj256ELj64ELj16E21rocsparse_complex_numIfEEEviPKiS4_PT2_S4_PiS4_S7_S7_d21rocsparse_index_base_ ; -- Begin function _ZN9rocsparseL18csric0_hash_kernelILj256ELj64ELj16E21rocsparse_complex_numIfEEEviPKiS4_PT2_S4_PiS4_S7_S7_d21rocsparse_index_base_
	.p2align	8
	.type	_ZN9rocsparseL18csric0_hash_kernelILj256ELj64ELj16E21rocsparse_complex_numIfEEEviPKiS4_PT2_S4_PiS4_S7_S7_d21rocsparse_index_base_,@function
_ZN9rocsparseL18csric0_hash_kernelILj256ELj64ELj16E21rocsparse_complex_numIfEEEviPKiS4_PT2_S4_PiS4_S7_S7_d21rocsparse_index_base_: ; @_ZN9rocsparseL18csric0_hash_kernelILj256ELj64ELj16E21rocsparse_complex_numIfEEEviPKiS4_PT2_S4_PiS4_S7_S7_d21rocsparse_index_base_
; %bb.0:
	s_load_dwordx8 s[16:23], s[4:5], 0x8
	s_load_dwordx8 s[8:15], s[4:5], 0x28
	v_and_b32_e32 v7, 63, v0
	v_lshrrev_b32_e32 v1, 6, v0
	v_lshlrev_b32_e32 v3, 12, v1
	v_lshlrev_b32_e32 v4, 2, v7
	s_movk_i32 s0, 0x4000
	v_or_b32_e32 v2, 0xffffffc0, v7
	v_or3_b32 v3, v3, v4, s0
	s_mov_b64 s[0:1], 0
	v_mov_b32_e32 v4, -1
	s_movk_i32 s2, 0x3bf
.LBB37_1:                               ; =>This Inner Loop Header: Depth=1
	v_add_u32_e32 v2, 64, v2
	v_cmp_lt_u32_e32 vcc, s2, v2
	ds_write_b32 v3, v4
	s_or_b64 s[0:1], vcc, s[0:1]
	v_add_u32_e32 v3, 0x100, v3
	s_andn2_b64 exec, exec, s[0:1]
	s_cbranch_execnz .LBB37_1
; %bb.2:
	s_or_b64 exec, exec, s[0:1]
	s_load_dword s0, s[4:5], 0x0
	s_lshl_b32 s1, s6, 2
	s_and_b32 s1, s1, 0x3fffffc
	v_or_b32_e32 v1, s1, v1
	s_waitcnt lgkmcnt(0)
	v_cmp_gt_i32_e32 vcc, s0, v1
	s_and_saveexec_b64 s[0:1], vcc
	s_cbranch_execz .LBB37_54
; %bb.3:
	v_lshlrev_b32_e32 v1, 2, v1
	global_load_dword v4, v1, s[10:11]
	v_mov_b32_e32 v6, s17
	v_mov_b32_e32 v1, s23
	s_load_dword s33, s[4:5], 0x50
	v_lshlrev_b32_e32 v0, 6, v0
	s_waitcnt vmcnt(0)
	v_ashrrev_i32_e32 v5, 31, v4
	v_lshlrev_b64 v[2:3], 2, v[4:5]
	v_add_co_u32_e32 v8, vcc, s16, v2
	v_addc_co_u32_e32 v9, vcc, v6, v3, vcc
	global_load_dwordx2 v[8:9], v[8:9], off
	v_add_co_u32_e32 v10, vcc, s22, v2
	v_addc_co_u32_e32 v11, vcc, v1, v3, vcc
	global_load_dword v6, v[10:11], off
	v_and_b32_e32 v5, 0x3000, v0
	v_or_b32_e32 v22, 0x4000, v5
	s_waitcnt vmcnt(1) lgkmcnt(0)
	v_subrev_u32_e32 v0, s33, v8
	v_subrev_u32_e32 v1, s33, v9
	v_add_u32_e32 v8, v0, v7
	v_cmp_lt_i32_e32 vcc, v8, v1
	s_and_saveexec_b64 s[0:1], vcc
	s_cbranch_execz .LBB37_13
; %bb.4:
	s_mov_b64 s[2:3], 0
	v_mov_b32_e32 v10, s19
	s_movk_i32 s34, 0x67
	v_mov_b32_e32 v11, -1
	s_branch .LBB37_6
.LBB37_5:                               ;   in Loop: Header=BB37_6 Depth=1
	s_or_b64 exec, exec, s[6:7]
	v_add_u32_e32 v8, 64, v8
	v_cmp_ge_i32_e32 vcc, v8, v1
	s_or_b64 s[2:3], vcc, s[2:3]
	s_andn2_b64 exec, exec, s[2:3]
	s_cbranch_execz .LBB37_13
.LBB37_6:                               ; =>This Loop Header: Depth=1
                                        ;     Child Loop BB37_9 Depth 2
	v_ashrrev_i32_e32 v9, 31, v8
	v_lshlrev_b64 v[12:13], 2, v[8:9]
	v_add_co_u32_e32 v12, vcc, s18, v12
	v_addc_co_u32_e32 v13, vcc, v10, v13, vcc
	global_load_dword v9, v[12:13], off
	s_waitcnt vmcnt(0)
	v_mul_lo_u32 v12, v9, s34
	v_and_b32_e32 v12, 0x3ff, v12
	v_lshl_add_u32 v13, v12, 2, v22
	ds_read_b32 v14, v13
	s_waitcnt lgkmcnt(0)
	v_cmp_ne_u32_e32 vcc, v14, v9
	s_and_saveexec_b64 s[6:7], vcc
	s_cbranch_execz .LBB37_5
; %bb.7:                                ;   in Loop: Header=BB37_6 Depth=1
	s_mov_b64 s[10:11], 0
                                        ; implicit-def: $sgpr24_sgpr25
                                        ; implicit-def: $sgpr28_sgpr29
                                        ; implicit-def: $sgpr26_sgpr27
	s_branch .LBB37_9
.LBB37_8:                               ;   in Loop: Header=BB37_9 Depth=2
	s_or_b64 exec, exec, s[30:31]
	s_and_b64 s[30:31], exec, s[28:29]
	s_or_b64 s[10:11], s[30:31], s[10:11]
	s_andn2_b64 s[24:25], s[24:25], exec
	s_and_b64 s[30:31], s[26:27], exec
	s_or_b64 s[24:25], s[24:25], s[30:31]
	s_andn2_b64 exec, exec, s[10:11]
	s_cbranch_execz .LBB37_11
.LBB37_9:                               ;   Parent Loop BB37_6 Depth=1
                                        ; =>  This Inner Loop Header: Depth=2
	ds_cmpst_rtn_b32 v13, v13, v11, v9
	v_mov_b32_e32 v14, v12
	s_or_b64 s[26:27], s[26:27], exec
	s_or_b64 s[28:29], s[28:29], exec
                                        ; implicit-def: $vgpr12
	s_waitcnt lgkmcnt(0)
	v_cmp_ne_u32_e32 vcc, -1, v13
                                        ; implicit-def: $vgpr13
	s_and_saveexec_b64 s[30:31], vcc
	s_cbranch_execz .LBB37_8
; %bb.10:                               ;   in Loop: Header=BB37_9 Depth=2
	v_add_u32_e32 v12, 1, v14
	v_and_b32_e32 v12, 0x3ff, v12
	v_lshl_add_u32 v13, v12, 2, v22
	ds_read_b32 v15, v13
	s_andn2_b64 s[28:29], s[28:29], exec
	s_andn2_b64 s[26:27], s[26:27], exec
	s_waitcnt lgkmcnt(0)
	v_cmp_eq_u32_e32 vcc, v15, v9
	s_and_b64 s[36:37], vcc, exec
	s_or_b64 s[28:29], s[28:29], s[36:37]
	s_branch .LBB37_8
.LBB37_11:                              ;   in Loop: Header=BB37_6 Depth=1
	s_or_b64 exec, exec, s[10:11]
	s_and_saveexec_b64 s[10:11], s[24:25]
	s_xor_b64 s[10:11], exec, s[10:11]
	s_cbranch_execz .LBB37_5
; %bb.12:                               ;   in Loop: Header=BB37_6 Depth=1
	v_lshl_add_u32 v9, v14, 2, v5
	ds_write_b32 v9, v8
	s_branch .LBB37_5
.LBB37_13:
	s_or_b64 exec, exec, s[0:1]
	v_mov_b32_e32 v9, 0
	s_waitcnt vmcnt(0)
	v_cmp_lt_i32_e32 vcc, v0, v6
	v_mov_b32_e32 v8, v9
	s_waitcnt lgkmcnt(0)
	s_and_saveexec_b64 s[6:7], vcc
	s_cbranch_execz .LBB37_35
; %bb.14:
	v_mov_b32_e32 v8, 0
	v_add_u32_e32 v23, -1, v6
	v_subrev_u32_e32 v24, s33, v7
	v_cmp_eq_u32_e64 s[0:1], 63, v7
	s_mov_b64 s[10:11], 0
	v_mov_b32_e32 v25, s19
	v_mov_b32_e32 v26, s21
	;; [unrolled: 1-line block ×5, first 2 shown]
	s_movk_i32 s17, 0x67
	v_mov_b32_e32 v9, v8
	s_branch .LBB37_17
.LBB37_15:                              ;   in Loop: Header=BB37_17 Depth=1
	s_or_b64 exec, exec, s[24:25]
	v_add_u32_e32 v0, 1, v0
	v_cmp_ge_i32_e32 vcc, v0, v6
	s_orn2_b64 s[24:25], vcc, exec
.LBB37_16:                              ;   in Loop: Header=BB37_17 Depth=1
	s_or_b64 exec, exec, s[2:3]
	s_and_b64 s[2:3], exec, s[24:25]
	s_or_b64 s[10:11], s[2:3], s[10:11]
	s_andn2_b64 exec, exec, s[10:11]
	s_cbranch_execz .LBB37_34
.LBB37_17:                              ; =>This Loop Header: Depth=1
                                        ;     Child Loop BB37_18 Depth 2
                                        ;     Child Loop BB37_24 Depth 2
                                        ;       Child Loop BB37_27 Depth 3
	v_ashrrev_i32_e32 v1, 31, v0
	v_lshlrev_b64 v[10:11], 2, v[0:1]
	v_add_co_u32_e32 v10, vcc, s18, v10
	v_addc_co_u32_e32 v11, vcc, v25, v11, vcc
	global_load_dword v14, v[10:11], off
	v_lshlrev_b64 v[10:11], 3, v[0:1]
	v_add_co_u32_e32 v10, vcc, s20, v10
	v_addc_co_u32_e32 v11, vcc, v26, v11, vcc
	global_load_dwordx2 v[12:13], v[10:11], off
	s_mov_b64 s[2:3], 0
	s_waitcnt vmcnt(1)
	v_subrev_u32_e32 v14, s33, v14
	v_ashrrev_i32_e32 v15, 31, v14
	v_lshlrev_b64 v[14:15], 2, v[14:15]
	v_add_co_u32_e32 v18, vcc, s16, v14
	v_addc_co_u32_e32 v19, vcc, v27, v15, vcc
	v_add_co_u32_e32 v20, vcc, s22, v14
	v_addc_co_u32_e32 v21, vcc, v28, v15, vcc
	global_load_dword v1, v[18:19], off
	global_load_dword v16, v[20:21], off
	v_add_co_u32_e32 v14, vcc, s8, v14
	v_addc_co_u32_e32 v15, vcc, v29, v15, vcc
.LBB37_18:                              ;   Parent Loop BB37_17 Depth=1
                                        ; =>  This Inner Loop Header: Depth=2
	global_load_dword v17, v[14:15], off glc
	s_waitcnt vmcnt(0)
	v_cmp_ne_u32_e32 vcc, 0, v17
	s_or_b64 s[2:3], vcc, s[2:3]
	s_andn2_b64 exec, exec, s[2:3]
	s_cbranch_execnz .LBB37_18
; %bb.19:                               ;   in Loop: Header=BB37_17 Depth=1
	s_or_b64 exec, exec, s[2:3]
	v_cmp_eq_u32_e32 vcc, -1, v16
	v_cndmask_b32_e32 v16, v16, v23, vcc
	v_ashrrev_i32_e32 v17, 31, v16
	v_lshlrev_b64 v[14:15], 3, v[16:17]
	v_add_co_u32_e32 v14, vcc, s20, v14
	v_addc_co_u32_e32 v15, vcc, v26, v15, vcc
	buffer_wbinvl1_vol
	global_load_dwordx2 v[14:15], v[14:15], off
	s_mov_b64 s[24:25], -1
	s_waitcnt vmcnt(0)
	v_cmp_neq_f32_e32 vcc, 0, v14
	v_cmp_neq_f32_e64 s[2:3], 0, v15
	s_or_b64 s[26:27], vcc, s[2:3]
	s_and_saveexec_b64 s[2:3], s[26:27]
	s_cbranch_execz .LBB37_16
; %bb.20:                               ;   in Loop: Header=BB37_17 Depth=1
	v_add_u32_e32 v20, v24, v1
	v_mov_b32_e32 v19, 0
	v_cmp_lt_i32_e32 vcc, v20, v16
	v_mov_b32_e32 v18, v19
	s_and_saveexec_b64 s[24:25], vcc
	s_cbranch_execz .LBB37_32
; %bb.21:                               ;   in Loop: Header=BB37_17 Depth=1
	v_mov_b32_e32 v18, 0
	s_mov_b64 s[26:27], 0
	v_mov_b32_e32 v19, v18
	s_branch .LBB37_24
.LBB37_22:                              ;   in Loop: Header=BB37_24 Depth=2
	s_or_b64 exec, exec, s[30:31]
.LBB37_23:                              ;   in Loop: Header=BB37_24 Depth=2
	s_or_b64 exec, exec, s[28:29]
	v_add_u32_e32 v20, 64, v20
	v_cmp_ge_i32_e32 vcc, v20, v16
	s_or_b64 s[26:27], vcc, s[26:27]
	s_andn2_b64 exec, exec, s[26:27]
	s_cbranch_execz .LBB37_31
.LBB37_24:                              ;   Parent Loop BB37_17 Depth=1
                                        ; =>  This Loop Header: Depth=2
                                        ;       Child Loop BB37_27 Depth 3
	v_ashrrev_i32_e32 v21, 31, v20
	v_lshlrev_b64 v[30:31], 2, v[20:21]
	v_add_co_u32_e32 v30, vcc, s18, v30
	v_addc_co_u32_e32 v31, vcc, v25, v31, vcc
	global_load_dword v1, v[30:31], off
	s_waitcnt vmcnt(0)
	v_mul_lo_u32 v17, v1, s17
	v_and_b32_e32 v31, 0x3ff, v17
	v_lshl_add_u32 v17, v31, 2, v22
	ds_read_b32 v30, v17
	s_waitcnt lgkmcnt(0)
	v_cmp_ne_u32_e32 vcc, -1, v30
	s_and_saveexec_b64 s[28:29], vcc
	s_cbranch_execz .LBB37_23
; %bb.25:                               ;   in Loop: Header=BB37_24 Depth=2
	s_mov_b64 s[34:35], 0
                                        ; implicit-def: $sgpr30_sgpr31
                                        ; implicit-def: $sgpr38_sgpr39
                                        ; implicit-def: $sgpr36_sgpr37
	s_branch .LBB37_27
.LBB37_26:                              ;   in Loop: Header=BB37_27 Depth=3
	s_or_b64 exec, exec, s[40:41]
	s_and_b64 s[40:41], exec, s[38:39]
	s_or_b64 s[34:35], s[40:41], s[34:35]
	s_andn2_b64 s[30:31], s[30:31], exec
	s_and_b64 s[40:41], s[36:37], exec
	s_or_b64 s[30:31], s[30:31], s[40:41]
	s_andn2_b64 exec, exec, s[34:35]
	s_cbranch_execz .LBB37_29
.LBB37_27:                              ;   Parent Loop BB37_17 Depth=1
                                        ;     Parent Loop BB37_24 Depth=2
                                        ; =>    This Inner Loop Header: Depth=3
	v_mov_b32_e32 v17, v31
	v_cmp_ne_u32_e32 vcc, v30, v1
	s_or_b64 s[36:37], s[36:37], exec
	s_or_b64 s[38:39], s[38:39], exec
                                        ; implicit-def: $vgpr31
                                        ; implicit-def: $vgpr30
	s_and_saveexec_b64 s[40:41], vcc
	s_cbranch_execz .LBB37_26
; %bb.28:                               ;   in Loop: Header=BB37_27 Depth=3
	v_add_u32_e32 v30, 1, v17
	v_and_b32_e32 v31, 0x3ff, v30
	v_lshl_add_u32 v30, v31, 2, v22
	ds_read_b32 v30, v30
	s_andn2_b64 s[38:39], s[38:39], exec
	s_andn2_b64 s[36:37], s[36:37], exec
	s_waitcnt lgkmcnt(0)
	v_cmp_eq_u32_e32 vcc, -1, v30
	s_and_b64 s[42:43], vcc, exec
	s_or_b64 s[38:39], s[38:39], s[42:43]
	s_branch .LBB37_26
.LBB37_29:                              ;   in Loop: Header=BB37_24 Depth=2
	s_or_b64 exec, exec, s[34:35]
	s_and_saveexec_b64 s[34:35], s[30:31]
	s_xor_b64 s[30:31], exec, s[34:35]
	s_cbranch_execz .LBB37_22
; %bb.30:                               ;   in Loop: Header=BB37_24 Depth=2
	v_lshl_add_u32 v1, v17, 2, v5
	ds_read_b32 v30, v1
	v_lshlrev_b64 v[32:33], 3, v[20:21]
	v_add_co_u32_e32 v32, vcc, s20, v32
	v_addc_co_u32_e32 v33, vcc, v26, v33, vcc
	s_waitcnt lgkmcnt(0)
	v_ashrrev_i32_e32 v31, 31, v30
	v_lshlrev_b64 v[30:31], 3, v[30:31]
	v_add_co_u32_e32 v30, vcc, s20, v30
	v_addc_co_u32_e32 v31, vcc, v26, v31, vcc
	global_load_dwordx2 v[34:35], v[30:31], off
	global_load_dwordx2 v[36:37], v[32:33], off
	s_waitcnt vmcnt(0)
	v_pk_fma_f32 v[18:19], v[36:37], v[34:35], v[18:19] op_sel:[1,0,0] op_sel_hi:[0,0,1]
	v_pk_fma_f32 v[18:19], v[36:37], v[34:35], v[18:19] op_sel:[0,1,0] neg_lo:[0,1,0]
	s_branch .LBB37_22
.LBB37_31:                              ;   in Loop: Header=BB37_17 Depth=1
	s_or_b64 exec, exec, s[26:27]
.LBB37_32:                              ;   in Loop: Header=BB37_17 Depth=1
	s_or_b64 exec, exec, s[24:25]
	v_mov_b32_e32 v16, v19
	v_mov_b32_e32 v17, v18
	v_mov_b32_dpp v20, v19 row_shr:1 row_mask:0xf bank_mask:0xf
	v_mov_b32_dpp v21, v18 row_shr:1 row_mask:0xf bank_mask:0xf
	v_pk_add_f32 v[16:17], v[16:17], v[20:21]
	s_nop 1
	v_mov_b32_dpp v18, v16 row_shr:2 row_mask:0xf bank_mask:0xf
	v_mov_b32_dpp v19, v17 row_shr:2 row_mask:0xf bank_mask:0xf
	v_pk_add_f32 v[16:17], v[16:17], v[18:19]
	s_nop 1
	;; [unrolled: 4-line block ×4, first 2 shown]
	v_mov_b32_dpp v18, v16 row_bcast:15 row_mask:0xa bank_mask:0xf
	v_mov_b32_dpp v19, v17 row_bcast:15 row_mask:0xa bank_mask:0xf
	v_pk_add_f32 v[16:17], v[16:17], v[18:19]
	s_nop 1
	v_mov_b32_dpp v18, v16 row_bcast:31 row_mask:0xc bank_mask:0xf
	v_mov_b32_dpp v19, v17 row_bcast:31 row_mask:0xc bank_mask:0xf
	s_and_saveexec_b64 s[24:25], s[0:1]
	s_cbranch_execz .LBB37_15
; %bb.33:                               ;   in Loop: Header=BB37_17 Depth=1
	v_mul_f32_e32 v1, v15, v15
	v_fmac_f32_e32 v1, v14, v14
	v_div_scale_f32 v20, s[26:27], v1, v1, 1.0
	v_rcp_f32_e32 v21, v20
	v_div_scale_f32 v30, vcc, 1.0, v1, 1.0
	v_pk_add_f32 v[16:17], v[16:17], v[18:19]
	v_fma_f32 v31, -v20, v21, 1.0
	v_fmac_f32_e32 v21, v31, v21
	v_mul_f32_e32 v31, v30, v21
	v_fma_f32 v32, -v20, v31, v30
	v_fmac_f32_e32 v31, v32, v21
	v_fma_f32 v20, -v20, v31, v30
	v_div_fmas_f32 v20, v20, v21, v31
	v_div_fixup_f32 v1, v20, v1, 1.0
	v_fma_f32 v20, 0, v15, v14
	v_fma_f32 v14, v14, 0, -v15
	v_mul_f32_e32 v14, v14, v1
	v_pk_add_f32 v[12:13], v[12:13], v[16:17] neg_lo:[0,1] neg_hi:[0,1]
	v_mul_f32_e32 v20, v20, v1
	v_pk_mul_f32 v[14:15], v[14:15], v[12:13] op_sel:[0,1] op_sel_hi:[0,0] neg_lo:[0,1]
	v_pk_fma_f32 v[12:13], v[12:13], v[20:21], v[14:15] op_sel_hi:[1,0,1]
	v_xor_b32_e32 v14, 0x80000000, v13
	v_pk_fma_f32 v[8:9], v[12:13], v[12:13], v[8:9] op_sel:[1,0,0] op_sel_hi:[0,0,1]
	v_mov_b32_e32 v15, v13
	v_pk_fma_f32 v[8:9], v[12:13], v[14:15], v[8:9]
	global_store_dwordx2 v[10:11], v[12:13], off
	s_branch .LBB37_15
.LBB37_34:
	s_or_b64 exec, exec, s[10:11]
.LBB37_35:
	s_or_b64 exec, exec, s[6:7]
	v_cmp_eq_u32_e64 s[0:1], 63, v7
	v_cmp_lt_i32_e32 vcc, -1, v6
	s_and_b64 s[2:3], s[0:1], vcc
	s_and_saveexec_b64 s[6:7], s[2:3]
	s_cbranch_execz .LBB37_52
; %bb.36:
	v_mov_b32_e32 v7, 0
	v_lshlrev_b64 v[0:1], 3, v[6:7]
	v_mov_b32_e32 v5, s21
	v_add_co_u32_e32 v0, vcc, s20, v0
	v_addc_co_u32_e32 v1, vcc, v5, v1, vcc
	global_load_dwordx2 v[6:7], v[0:1], off
	s_load_dwordx2 s[2:3], s[4:5], 0x48
	v_add_u32_e32 v4, s33, v4
	s_waitcnt lgkmcnt(0)
	v_mul_f64 v[10:11], s[2:3], s[2:3]
	s_waitcnt vmcnt(0)
	v_pk_add_f32 v[6:7], v[6:7], v[8:9] op_sel:[1,0] op_sel_hi:[0,1] neg_lo:[0,1] neg_hi:[0,1]
	v_cvt_f64_f32_e32 v[8:9], v7
	v_cmp_eq_f32_e32 vcc, 0, v6
	v_cmp_ge_f64_e64 s[2:3], v[10:11], v[8:9]
	s_and_b64 s[4:5], s[2:3], vcc
	s_and_saveexec_b64 s[2:3], s[4:5]
	s_cbranch_execz .LBB37_41
; %bb.37:
	s_mov_b64 s[4:5], exec
	s_brev_b32 s10, -2
.LBB37_38:                              ; =>This Inner Loop Header: Depth=1
	s_ff1_i32_b64 s11, s[4:5]
	v_readlane_b32 s18, v4, s11
	s_lshl_b64 s[16:17], 1, s11
	s_min_i32 s10, s10, s18
	s_andn2_b64 s[4:5], s[4:5], s[16:17]
	s_cmp_lg_u64 s[4:5], 0
	s_cbranch_scc1 .LBB37_38
; %bb.39:
	v_mbcnt_lo_u32_b32 v5, exec_lo, 0
	v_mbcnt_hi_u32_b32 v5, exec_hi, v5
	v_cmp_eq_u32_e32 vcc, 0, v5
	s_and_saveexec_b64 s[4:5], vcc
	s_xor_b64 s[4:5], exec, s[4:5]
	s_cbranch_execz .LBB37_41
; %bb.40:
	v_mov_b32_e32 v5, 0
	v_mov_b32_e32 v8, s10
	global_atomic_smin v5, v8, s[14:15]
.LBB37_41:
	s_or_b64 exec, exec, s[2:3]
	v_cmp_gt_f32_e32 vcc, 0, v6
	v_cndmask_b32_e64 v5, v6, -v6, vcc
	v_cmp_gt_f32_e32 vcc, 0, v7
	v_cndmask_b32_e64 v7, v7, -v7, vcc
	v_cmp_ngt_f32_e32 vcc, v7, v5
                                        ; implicit-def: $vgpr8
	s_and_saveexec_b64 s[2:3], vcc
	s_xor_b64 s[4:5], exec, s[2:3]
	s_cbranch_execz .LBB37_45
; %bb.42:
	v_cmp_neq_f32_e32 vcc, 0, v6
	v_mov_b32_e32 v8, 0
	s_and_saveexec_b64 s[10:11], vcc
	s_cbranch_execz .LBB37_44
; %bb.43:
	v_div_scale_f32 v6, s[2:3], v5, v5, v7
	v_rcp_f32_e32 v8, v6
	v_div_scale_f32 v9, vcc, v7, v5, v7
	s_mov_b32 s2, 0xf800000
	v_fma_f32 v10, -v6, v8, 1.0
	v_fmac_f32_e32 v8, v10, v8
	v_mul_f32_e32 v10, v9, v8
	v_fma_f32 v11, -v6, v10, v9
	v_fmac_f32_e32 v10, v11, v8
	v_fma_f32 v6, -v6, v10, v9
	v_div_fmas_f32 v6, v6, v8, v10
	v_div_fixup_f32 v6, v6, v5, v7
	v_fma_f32 v6, v6, v6, 1.0
	v_mul_f32_e32 v7, 0x4f800000, v6
	v_cmp_gt_f32_e32 vcc, s2, v6
	v_cndmask_b32_e32 v6, v6, v7, vcc
	v_sqrt_f32_e32 v7, v6
	v_add_u32_e32 v8, -1, v7
	v_fma_f32 v9, -v8, v7, v6
	v_cmp_ge_f32_e64 s[2:3], 0, v9
	v_add_u32_e32 v9, 1, v7
	v_cndmask_b32_e64 v8, v7, v8, s[2:3]
	v_fma_f32 v7, -v9, v7, v6
	v_cmp_lt_f32_e64 s[2:3], 0, v7
	v_cndmask_b32_e64 v7, v8, v9, s[2:3]
	v_mul_f32_e32 v8, 0x37800000, v7
	v_cndmask_b32_e32 v7, v7, v8, vcc
	v_mov_b32_e32 v8, 0x260
	v_cmp_class_f32_e32 vcc, v6, v8
	v_cndmask_b32_e32 v6, v7, v6, vcc
	v_mul_f32_e32 v8, v5, v6
.LBB37_44:
	s_or_b64 exec, exec, s[10:11]
                                        ; implicit-def: $vgpr7
                                        ; implicit-def: $vgpr5
.LBB37_45:
	s_andn2_saveexec_b64 s[4:5], s[4:5]
	s_cbranch_execz .LBB37_47
; %bb.46:
	v_div_scale_f32 v6, s[2:3], v7, v7, v5
	v_rcp_f32_e32 v8, v6
	v_div_scale_f32 v9, vcc, v5, v7, v5
	s_mov_b32 s2, 0xf800000
	v_fma_f32 v10, -v6, v8, 1.0
	v_fmac_f32_e32 v8, v10, v8
	v_mul_f32_e32 v10, v9, v8
	v_fma_f32 v11, -v6, v10, v9
	v_fmac_f32_e32 v10, v11, v8
	v_fma_f32 v6, -v6, v10, v9
	v_div_fmas_f32 v6, v6, v8, v10
	v_div_fixup_f32 v5, v6, v7, v5
	v_fma_f32 v5, v5, v5, 1.0
	v_mul_f32_e32 v6, 0x4f800000, v5
	v_cmp_gt_f32_e32 vcc, s2, v5
	v_cndmask_b32_e32 v5, v5, v6, vcc
	v_sqrt_f32_e32 v6, v5
	v_add_u32_e32 v8, -1, v6
	v_fma_f32 v9, -v8, v6, v5
	v_cmp_ge_f32_e64 s[2:3], 0, v9
	v_add_u32_e32 v9, 1, v6
	v_cndmask_b32_e64 v8, v6, v8, s[2:3]
	v_fma_f32 v6, -v9, v6, v5
	v_cmp_lt_f32_e64 s[2:3], 0, v6
	v_cndmask_b32_e64 v6, v8, v9, s[2:3]
	v_mul_f32_e32 v8, 0x37800000, v6
	v_cndmask_b32_e32 v6, v6, v8, vcc
	v_mov_b32_e32 v8, 0x260
	v_cmp_class_f32_e32 vcc, v5, v8
	v_cndmask_b32_e32 v5, v6, v5, vcc
	v_mul_f32_e32 v8, v7, v5
.LBB37_47:
	s_or_b64 exec, exec, s[4:5]
	s_mov_b32 s2, 0xf800000
	v_mul_f32_e32 v5, 0x4f800000, v8
	v_cmp_gt_f32_e32 vcc, s2, v8
	v_cndmask_b32_e32 v5, v8, v5, vcc
	v_sqrt_f32_e32 v6, v5
	v_add_u32_e32 v7, -1, v6
	v_fma_f32 v8, -v7, v6, v5
	v_cmp_ge_f32_e64 s[2:3], 0, v8
	v_add_u32_e32 v8, 1, v6
	v_cndmask_b32_e64 v7, v6, v7, s[2:3]
	v_fma_f32 v6, -v8, v6, v5
	v_cmp_lt_f32_e64 s[2:3], 0, v6
	v_cndmask_b32_e64 v6, v7, v8, s[2:3]
	v_mul_f32_e32 v7, 0x37800000, v6
	v_cndmask_b32_e32 v6, v6, v7, vcc
	v_mov_b32_e32 v7, 0x260
	v_cmp_class_f32_e32 vcc, v5, v7
	v_cndmask_b32_e32 v6, v6, v5, vcc
	v_mov_b32_e32 v7, 0
	v_cmp_eq_f32_e32 vcc, 0, v6
	global_store_dwordx2 v[0:1], v[6:7], off
	s_and_b64 exec, exec, vcc
	s_cbranch_execz .LBB37_52
; %bb.48:
	s_mov_b64 s[2:3], exec
	s_brev_b32 s4, -2
.LBB37_49:                              ; =>This Inner Loop Header: Depth=1
	s_ff1_i32_b64 s5, s[2:3]
	v_readlane_b32 s14, v4, s5
	s_lshl_b64 s[10:11], 1, s5
	s_min_i32 s4, s4, s14
	s_andn2_b64 s[2:3], s[2:3], s[10:11]
	s_cmp_lg_u64 s[2:3], 0
	s_cbranch_scc1 .LBB37_49
; %bb.50:
	v_mbcnt_lo_u32_b32 v0, exec_lo, 0
	v_mbcnt_hi_u32_b32 v0, exec_hi, v0
	v_cmp_eq_u32_e32 vcc, 0, v0
	s_and_saveexec_b64 s[2:3], vcc
	s_xor_b64 s[2:3], exec, s[2:3]
	s_cbranch_execz .LBB37_52
; %bb.51:
	v_mov_b32_e32 v0, 0
	v_mov_b32_e32 v1, s4
	global_atomic_smin v0, v1, s[12:13]
.LBB37_52:
	s_or_b64 exec, exec, s[6:7]
	s_and_b64 exec, exec, s[0:1]
	s_cbranch_execz .LBB37_54
; %bb.53:
	v_mov_b32_e32 v1, s9
	v_add_co_u32_e32 v0, vcc, s8, v2
	v_addc_co_u32_e32 v1, vcc, v1, v3, vcc
	v_mov_b32_e32 v2, 1
	s_waitcnt vmcnt(0)
	global_store_dword v[0:1], v2, off
.LBB37_54:
	s_endpgm
	.section	.rodata,"a",@progbits
	.p2align	6, 0x0
	.amdhsa_kernel _ZN9rocsparseL18csric0_hash_kernelILj256ELj64ELj16E21rocsparse_complex_numIfEEEviPKiS4_PT2_S4_PiS4_S7_S7_d21rocsparse_index_base_
		.amdhsa_group_segment_fixed_size 32768
		.amdhsa_private_segment_fixed_size 0
		.amdhsa_kernarg_size 84
		.amdhsa_user_sgpr_count 6
		.amdhsa_user_sgpr_private_segment_buffer 1
		.amdhsa_user_sgpr_dispatch_ptr 0
		.amdhsa_user_sgpr_queue_ptr 0
		.amdhsa_user_sgpr_kernarg_segment_ptr 1
		.amdhsa_user_sgpr_dispatch_id 0
		.amdhsa_user_sgpr_flat_scratch_init 0
		.amdhsa_user_sgpr_kernarg_preload_length 0
		.amdhsa_user_sgpr_kernarg_preload_offset 0
		.amdhsa_user_sgpr_private_segment_size 0
		.amdhsa_uses_dynamic_stack 0
		.amdhsa_system_sgpr_private_segment_wavefront_offset 0
		.amdhsa_system_sgpr_workgroup_id_x 1
		.amdhsa_system_sgpr_workgroup_id_y 0
		.amdhsa_system_sgpr_workgroup_id_z 0
		.amdhsa_system_sgpr_workgroup_info 0
		.amdhsa_system_vgpr_workitem_id 0
		.amdhsa_next_free_vgpr 38
		.amdhsa_next_free_sgpr 44
		.amdhsa_accum_offset 40
		.amdhsa_reserve_vcc 1
		.amdhsa_reserve_flat_scratch 0
		.amdhsa_float_round_mode_32 0
		.amdhsa_float_round_mode_16_64 0
		.amdhsa_float_denorm_mode_32 3
		.amdhsa_float_denorm_mode_16_64 3
		.amdhsa_dx10_clamp 1
		.amdhsa_ieee_mode 1
		.amdhsa_fp16_overflow 0
		.amdhsa_tg_split 0
		.amdhsa_exception_fp_ieee_invalid_op 0
		.amdhsa_exception_fp_denorm_src 0
		.amdhsa_exception_fp_ieee_div_zero 0
		.amdhsa_exception_fp_ieee_overflow 0
		.amdhsa_exception_fp_ieee_underflow 0
		.amdhsa_exception_fp_ieee_inexact 0
		.amdhsa_exception_int_div_zero 0
	.end_amdhsa_kernel
	.section	.text._ZN9rocsparseL18csric0_hash_kernelILj256ELj64ELj16E21rocsparse_complex_numIfEEEviPKiS4_PT2_S4_PiS4_S7_S7_d21rocsparse_index_base_,"axG",@progbits,_ZN9rocsparseL18csric0_hash_kernelILj256ELj64ELj16E21rocsparse_complex_numIfEEEviPKiS4_PT2_S4_PiS4_S7_S7_d21rocsparse_index_base_,comdat
.Lfunc_end37:
	.size	_ZN9rocsparseL18csric0_hash_kernelILj256ELj64ELj16E21rocsparse_complex_numIfEEEviPKiS4_PT2_S4_PiS4_S7_S7_d21rocsparse_index_base_, .Lfunc_end37-_ZN9rocsparseL18csric0_hash_kernelILj256ELj64ELj16E21rocsparse_complex_numIfEEEviPKiS4_PT2_S4_PiS4_S7_S7_d21rocsparse_index_base_
                                        ; -- End function
	.section	.AMDGPU.csdata,"",@progbits
; Kernel info:
; codeLenInByte = 2596
; NumSgprs: 48
; NumVgprs: 38
; NumAgprs: 0
; TotalNumVgprs: 38
; ScratchSize: 0
; MemoryBound: 0
; FloatMode: 240
; IeeeMode: 1
; LDSByteSize: 32768 bytes/workgroup (compile time only)
; SGPRBlocks: 5
; VGPRBlocks: 4
; NumSGPRsForWavesPerEU: 48
; NumVGPRsForWavesPerEU: 38
; AccumOffset: 40
; Occupancy: 2
; WaveLimiterHint : 1
; COMPUTE_PGM_RSRC2:SCRATCH_EN: 0
; COMPUTE_PGM_RSRC2:USER_SGPR: 6
; COMPUTE_PGM_RSRC2:TRAP_HANDLER: 0
; COMPUTE_PGM_RSRC2:TGID_X_EN: 1
; COMPUTE_PGM_RSRC2:TGID_Y_EN: 0
; COMPUTE_PGM_RSRC2:TGID_Z_EN: 0
; COMPUTE_PGM_RSRC2:TIDIG_COMP_CNT: 0
; COMPUTE_PGM_RSRC3_GFX90A:ACCUM_OFFSET: 9
; COMPUTE_PGM_RSRC3_GFX90A:TG_SPLIT: 0
	.section	.text._ZN9rocsparseL23csric0_binsearch_kernelILj256ELj64ELb0E21rocsparse_complex_numIfEEEviPKiS4_PT2_S4_PiS4_S7_S7_d21rocsparse_index_base_,"axG",@progbits,_ZN9rocsparseL23csric0_binsearch_kernelILj256ELj64ELb0E21rocsparse_complex_numIfEEEviPKiS4_PT2_S4_PiS4_S7_S7_d21rocsparse_index_base_,comdat
	.globl	_ZN9rocsparseL23csric0_binsearch_kernelILj256ELj64ELb0E21rocsparse_complex_numIfEEEviPKiS4_PT2_S4_PiS4_S7_S7_d21rocsparse_index_base_ ; -- Begin function _ZN9rocsparseL23csric0_binsearch_kernelILj256ELj64ELb0E21rocsparse_complex_numIfEEEviPKiS4_PT2_S4_PiS4_S7_S7_d21rocsparse_index_base_
	.p2align	8
	.type	_ZN9rocsparseL23csric0_binsearch_kernelILj256ELj64ELb0E21rocsparse_complex_numIfEEEviPKiS4_PT2_S4_PiS4_S7_S7_d21rocsparse_index_base_,@function
_ZN9rocsparseL23csric0_binsearch_kernelILj256ELj64ELb0E21rocsparse_complex_numIfEEEviPKiS4_PT2_S4_PiS4_S7_S7_d21rocsparse_index_base_: ; @_ZN9rocsparseL23csric0_binsearch_kernelILj256ELj64ELb0E21rocsparse_complex_numIfEEEviPKiS4_PT2_S4_PiS4_S7_S7_d21rocsparse_index_base_
; %bb.0:
	s_load_dword s0, s[4:5], 0x0
	s_lshl_b32 s1, s6, 2
	v_lshrrev_b32_e32 v1, 6, v0
	s_and_b32 s1, s1, 0x3fffffc
	v_or_b32_e32 v1, s1, v1
	s_waitcnt lgkmcnt(0)
	v_cmp_gt_i32_e32 vcc, s0, v1
	s_and_saveexec_b64 s[0:1], vcc
	s_cbranch_execz .LBB38_54
; %bb.1:
	s_load_dwordx8 s[8:15], s[4:5], 0x18
	v_lshlrev_b32_e32 v1, 2, v1
	s_load_dwordx2 s[20:21], s[4:5], 0x8
	s_waitcnt lgkmcnt(0)
	global_load_dword v4, v1, s[14:15]
	v_mov_b32_e32 v1, s11
	v_mov_b32_e32 v6, s21
	s_waitcnt vmcnt(0)
	v_ashrrev_i32_e32 v5, 31, v4
	v_lshlrev_b64 v[2:3], 2, v[4:5]
	v_add_co_u32_e32 v10, vcc, s10, v2
	v_addc_co_u32_e32 v11, vcc, v1, v3, vcc
	v_add_co_u32_e32 v8, vcc, s20, v2
	v_addc_co_u32_e32 v9, vcc, v6, v3, vcc
	global_load_dword v7, v[8:9], off
	global_load_dword v6, v[10:11], off
	s_load_dword s33, s[4:5], 0x50
	s_load_dwordx4 s[16:19], s[4:5], 0x38
	s_load_dwordx2 s[14:15], s[4:5], 0x48
	v_mov_b32_e32 v1, 0
	v_and_b32_e32 v5, 63, v0
	v_mov_b32_e32 v0, v1
	s_waitcnt vmcnt(1) lgkmcnt(0)
	v_subrev_u32_e32 v7, s33, v7
	s_waitcnt vmcnt(0)
	v_cmp_lt_i32_e32 vcc, v7, v6
	s_and_saveexec_b64 s[22:23], vcc
	s_cbranch_execz .LBB38_35
; %bb.2:
	global_load_dword v1, v[8:9], off offset:4
	s_load_dwordx2 s[24:25], s[4:5], 0x10
	v_mov_b32_e32 v0, 0
	v_add_u32_e32 v24, -1, v6
	v_cmp_eq_u32_e64 s[0:1], 0, v5
	v_subrev_u32_e32 v25, s33, v5
	v_cmp_eq_u32_e64 s[2:3], 63, v5
	s_mov_b64 s[26:27], 0
	v_mov_b32_e32 v26, s9
	v_mov_b32_e32 v27, s21
	;; [unrolled: 1-line block ×6, first 2 shown]
	s_waitcnt lgkmcnt(0)
	v_mov_b32_e32 v31, s25
	s_waitcnt vmcnt(0)
	v_xad_u32 v32, s33, -1, v1
	v_mov_b32_e32 v1, v0
	s_branch .LBB38_5
.LBB38_3:                               ;   in Loop: Header=BB38_5 Depth=1
	s_or_b64 exec, exec, s[28:29]
.LBB38_4:                               ;   in Loop: Header=BB38_5 Depth=1
	s_or_b64 exec, exec, s[4:5]
	v_add_u32_e32 v8, 1, v8
	v_cmp_ge_i32_e32 vcc, v8, v6
	s_or_b64 s[4:5], s[6:7], vcc
	s_and_b64 s[4:5], exec, s[4:5]
	s_or_b64 s[26:27], s[4:5], s[26:27]
	s_andn2_b64 exec, exec, s[26:27]
	s_cbranch_execz .LBB38_34
.LBB38_5:                               ; =>This Loop Header: Depth=1
                                        ;     Child Loop BB38_7 Depth 2
                                        ;     Child Loop BB38_11 Depth 2
	;; [unrolled: 1-line block ×4, first 2 shown]
                                        ;       Child Loop BB38_27 Depth 3
	v_ashrrev_i32_e32 v9, 31, v8
	v_lshlrev_b64 v[10:11], 2, v[8:9]
	v_add_co_u32_e32 v10, vcc, s24, v10
	v_addc_co_u32_e32 v11, vcc, v31, v11, vcc
	global_load_dword v18, v[10:11], off
	v_lshlrev_b64 v[10:11], 3, v[8:9]
	v_add_co_u32_e32 v10, vcc, s8, v10
	v_addc_co_u32_e32 v11, vcc, v26, v11, vcc
	global_load_dwordx2 v[12:13], v[10:11], off
	s_waitcnt vmcnt(1)
	v_subrev_u32_e32 v14, s33, v18
	v_ashrrev_i32_e32 v15, 31, v14
	v_lshlrev_b64 v[14:15], 2, v[14:15]
	v_add_co_u32_e32 v20, vcc, s20, v14
	v_addc_co_u32_e32 v21, vcc, v27, v15, vcc
	v_add_co_u32_e32 v22, vcc, s10, v14
	v_addc_co_u32_e32 v23, vcc, v28, v15, vcc
	;; [unrolled: 2-line block ×3, first 2 shown]
	global_load_dword v9, v[20:21], off
	global_load_dword v16, v[22:23], off
	global_load_dword v17, v[14:15], off glc
	s_waitcnt vmcnt(0)
	v_cmp_eq_u32_e32 vcc, 0, v17
	s_and_saveexec_b64 s[4:5], vcc
	s_cbranch_execz .LBB38_8
; %bb.6:                                ;   in Loop: Header=BB38_5 Depth=1
	s_mov_b64 s[6:7], 0
.LBB38_7:                               ;   Parent Loop BB38_5 Depth=1
                                        ; =>  This Inner Loop Header: Depth=2
	global_load_dword v17, v[14:15], off glc
	s_waitcnt vmcnt(0)
	v_cmp_ne_u32_e32 vcc, 0, v17
	s_or_b64 s[6:7], vcc, s[6:7]
	s_andn2_b64 exec, exec, s[6:7]
	s_cbranch_execnz .LBB38_7
.LBB38_8:                               ;   in Loop: Header=BB38_5 Depth=1
	s_or_b64 exec, exec, s[4:5]
	v_cmp_eq_u32_e32 vcc, -1, v16
	v_cndmask_b32_e32 v16, v16, v24, vcc
	v_ashrrev_i32_e32 v17, 31, v16
	v_lshlrev_b64 v[14:15], 3, v[16:17]
	v_add_co_u32_e32 v14, vcc, s8, v14
	v_addc_co_u32_e32 v15, vcc, v26, v15, vcc
	buffer_wbinvl1_vol
	global_load_dwordx2 v[14:15], v[14:15], off
	s_waitcnt vmcnt(0)
	v_cmp_neq_f32_e64 s[4:5], 0, v14
	v_cmp_neq_f32_e64 s[6:7], 0, v15
	s_or_b64 s[4:5], s[4:5], s[6:7]
	v_cmp_eq_f32_e32 vcc, 0, v15
	s_xor_b64 s[6:7], s[4:5], -1
	s_and_saveexec_b64 s[4:5], s[6:7]
	s_xor_b64 s[28:29], exec, s[4:5]
	s_cbranch_execz .LBB38_15
; %bb.9:                                ;   in Loop: Header=BB38_5 Depth=1
	s_and_saveexec_b64 s[30:31], s[0:1]
	s_cbranch_execz .LBB38_14
; %bb.10:                               ;   in Loop: Header=BB38_5 Depth=1
	s_mov_b64 s[4:5], exec
	s_brev_b32 s11, -2
.LBB38_11:                              ;   Parent Loop BB38_5 Depth=1
                                        ; =>  This Inner Loop Header: Depth=2
	s_ff1_i32_b64 s21, s[4:5]
	v_readlane_b32 s36, v18, s21
	s_lshl_b64 s[34:35], 1, s21
	s_min_i32 s11, s11, s36
	s_andn2_b64 s[4:5], s[4:5], s[34:35]
	s_cmp_lg_u64 s[4:5], 0
	s_cbranch_scc1 .LBB38_11
; %bb.12:                               ;   in Loop: Header=BB38_5 Depth=1
	v_mbcnt_lo_u32_b32 v9, exec_lo, 0
	v_mbcnt_hi_u32_b32 v9, exec_hi, v9
	v_cmp_eq_u32_e64 s[4:5], 0, v9
	s_and_saveexec_b64 s[34:35], s[4:5]
	s_xor_b64 s[34:35], exec, s[34:35]
	s_cbranch_execz .LBB38_14
; %bb.13:                               ;   in Loop: Header=BB38_5 Depth=1
	v_mov_b32_e32 v9, s11
	global_atomic_smin v30, v9, s[16:17]
.LBB38_14:                              ;   in Loop: Header=BB38_5 Depth=1
	s_or_b64 exec, exec, s[30:31]
                                        ; implicit-def: $vgpr14_vgpr15
                                        ; implicit-def: $vgpr12_vgpr13
                                        ; implicit-def: $vgpr10_vgpr11
                                        ; implicit-def: $vgpr9
                                        ; implicit-def: $vgpr16
                                        ; implicit-def: $vgpr18
.LBB38_15:                              ;   in Loop: Header=BB38_5 Depth=1
	s_andn2_saveexec_b64 s[4:5], s[28:29]
	s_cbranch_execz .LBB38_4
; %bb.16:                               ;   in Loop: Header=BB38_5 Depth=1
	s_and_saveexec_b64 s[28:29], vcc
	s_cbranch_execz .LBB38_22
; %bb.17:                               ;   in Loop: Header=BB38_5 Depth=1
	v_cvt_f64_f32_e32 v[20:21], v14
	v_cmp_ge_f64_e32 vcc, s[14:15], v[20:21]
	s_and_b64 s[30:31], s[0:1], vcc
	s_and_b64 exec, exec, s[30:31]
	s_cbranch_execz .LBB38_22
; %bb.18:                               ;   in Loop: Header=BB38_5 Depth=1
	s_mov_b64 s[30:31], exec
	s_brev_b32 s11, -2
.LBB38_19:                              ;   Parent Loop BB38_5 Depth=1
                                        ; =>  This Inner Loop Header: Depth=2
	s_ff1_i32_b64 s21, s[30:31]
	v_readlane_b32 s36, v18, s21
	s_lshl_b64 s[34:35], 1, s21
	s_min_i32 s11, s11, s36
	s_andn2_b64 s[30:31], s[30:31], s[34:35]
	s_cmp_lg_u64 s[30:31], 0
	s_cbranch_scc1 .LBB38_19
; %bb.20:                               ;   in Loop: Header=BB38_5 Depth=1
	v_mbcnt_lo_u32_b32 v17, exec_lo, 0
	v_mbcnt_hi_u32_b32 v17, exec_hi, v17
	v_cmp_eq_u32_e32 vcc, 0, v17
	s_and_saveexec_b64 s[30:31], vcc
	s_xor_b64 s[30:31], exec, s[30:31]
	s_cbranch_execz .LBB38_22
; %bb.21:                               ;   in Loop: Header=BB38_5 Depth=1
	v_mov_b32_e32 v17, s11
	global_atomic_smin v30, v17, s[18:19]
.LBB38_22:                              ;   in Loop: Header=BB38_5 Depth=1
	s_or_b64 exec, exec, s[28:29]
	v_add_u32_e32 v20, v25, v9
	v_mov_b32_e32 v19, 0
	v_cmp_lt_i32_e32 vcc, v20, v16
	v_mov_b32_e32 v18, v19
	s_and_saveexec_b64 s[28:29], vcc
	s_cbranch_execz .LBB38_32
; %bb.23:                               ;   in Loop: Header=BB38_5 Depth=1
	v_mov_b32_e32 v18, 0
	s_mov_b64 s[30:31], 0
	v_mov_b32_e32 v9, v7
	v_mov_b32_e32 v19, v18
	s_branch .LBB38_25
.LBB38_24:                              ;   in Loop: Header=BB38_25 Depth=2
	s_or_b64 exec, exec, s[34:35]
	v_add_u32_e32 v20, 64, v20
	v_cmp_ge_i32_e32 vcc, v20, v16
	s_or_b64 s[30:31], vcc, s[30:31]
	s_andn2_b64 exec, exec, s[30:31]
	s_cbranch_execz .LBB38_31
.LBB38_25:                              ;   Parent Loop BB38_5 Depth=1
                                        ; =>  This Loop Header: Depth=2
                                        ;       Child Loop BB38_27 Depth 3
	v_ashrrev_i32_e32 v21, 31, v20
	v_add_u32_e32 v17, v9, v32
	v_lshlrev_b64 v[22:23], 2, v[20:21]
	v_mov_b32_e32 v33, s25
	v_add_co_u32_e32 v34, vcc, s24, v22
	v_ashrrev_i32_e32 v22, 1, v17
	v_addc_co_u32_e32 v35, vcc, v33, v23, vcc
	v_ashrrev_i32_e32 v23, 31, v22
	v_lshlrev_b64 v[36:37], 2, v[22:23]
	v_add_co_u32_e32 v36, vcc, s24, v36
	v_addc_co_u32_e32 v37, vcc, v33, v37, vcc
	global_load_dword v17, v[34:35], off
	global_load_dword v33, v[36:37], off
	v_cmp_lt_i32_e32 vcc, v9, v32
	s_and_saveexec_b64 s[34:35], vcc
	s_cbranch_execz .LBB38_29
; %bb.26:                               ;   in Loop: Header=BB38_25 Depth=2
	s_mov_b64 s[36:37], 0
	v_mov_b32_e32 v34, v32
.LBB38_27:                              ;   Parent Loop BB38_5 Depth=1
                                        ;     Parent Loop BB38_25 Depth=2
                                        ; =>    This Inner Loop Header: Depth=3
	v_add_u32_e32 v23, 1, v22
	s_waitcnt vmcnt(0)
	v_cmp_lt_i32_e32 vcc, v33, v17
	v_cndmask_b32_e32 v34, v22, v34, vcc
	v_cndmask_b32_e32 v9, v9, v23, vcc
	v_add_u32_e32 v22, v34, v9
	v_ashrrev_i32_e32 v22, 1, v22
	v_ashrrev_i32_e32 v23, 31, v22
	v_lshlrev_b64 v[36:37], 2, v[22:23]
	v_mov_b32_e32 v33, s25
	v_add_co_u32_e32 v36, vcc, s24, v36
	v_addc_co_u32_e32 v37, vcc, v33, v37, vcc
	global_load_dword v33, v[36:37], off
	v_cmp_ge_i32_e32 vcc, v9, v34
	s_or_b64 s[36:37], vcc, s[36:37]
	s_andn2_b64 exec, exec, s[36:37]
	s_cbranch_execnz .LBB38_27
; %bb.28:                               ;   in Loop: Header=BB38_25 Depth=2
	s_or_b64 exec, exec, s[36:37]
.LBB38_29:                              ;   in Loop: Header=BB38_25 Depth=2
	s_or_b64 exec, exec, s[34:35]
	s_waitcnt vmcnt(0)
	v_cmp_eq_u32_e32 vcc, v33, v17
	s_and_saveexec_b64 s[34:35], vcc
	s_cbranch_execz .LBB38_24
; %bb.30:                               ;   in Loop: Header=BB38_25 Depth=2
	v_lshlrev_b64 v[34:35], 3, v[20:21]
	v_mov_b32_e32 v17, s9
	v_add_co_u32_e32 v34, vcc, s8, v34
	v_addc_co_u32_e32 v35, vcc, v17, v35, vcc
	v_lshlrev_b64 v[22:23], 3, v[22:23]
	v_add_co_u32_e32 v22, vcc, s8, v22
	v_addc_co_u32_e32 v23, vcc, v17, v23, vcc
	global_load_dwordx2 v[36:37], v[22:23], off
	global_load_dwordx2 v[38:39], v[34:35], off
	s_waitcnt vmcnt(0)
	v_pk_fma_f32 v[18:19], v[38:39], v[36:37], v[18:19] op_sel:[1,0,0] op_sel_hi:[0,0,1]
	v_pk_fma_f32 v[18:19], v[38:39], v[36:37], v[18:19] op_sel:[0,1,0] neg_lo:[0,1,0]
	s_branch .LBB38_24
.LBB38_31:                              ;   in Loop: Header=BB38_5 Depth=1
	s_or_b64 exec, exec, s[30:31]
.LBB38_32:                              ;   in Loop: Header=BB38_5 Depth=1
	s_or_b64 exec, exec, s[28:29]
	v_mov_b32_e32 v16, v19
	v_mov_b32_e32 v17, v18
	v_mov_b32_dpp v20, v19 row_shr:1 row_mask:0xf bank_mask:0xf
	v_mov_b32_dpp v21, v18 row_shr:1 row_mask:0xf bank_mask:0xf
	v_pk_add_f32 v[16:17], v[16:17], v[20:21]
	s_nop 1
	v_mov_b32_dpp v18, v16 row_shr:2 row_mask:0xf bank_mask:0xf
	v_mov_b32_dpp v19, v17 row_shr:2 row_mask:0xf bank_mask:0xf
	v_pk_add_f32 v[16:17], v[16:17], v[18:19]
	s_nop 1
	;; [unrolled: 4-line block ×4, first 2 shown]
	v_mov_b32_dpp v18, v16 row_bcast:15 row_mask:0xa bank_mask:0xf
	v_mov_b32_dpp v19, v17 row_bcast:15 row_mask:0xa bank_mask:0xf
	v_pk_add_f32 v[16:17], v[16:17], v[18:19]
	s_nop 1
	v_mov_b32_dpp v18, v16 row_bcast:31 row_mask:0xc bank_mask:0xf
	v_mov_b32_dpp v19, v17 row_bcast:31 row_mask:0xc bank_mask:0xf
	s_and_saveexec_b64 s[28:29], s[2:3]
	s_cbranch_execz .LBB38_3
; %bb.33:                               ;   in Loop: Header=BB38_5 Depth=1
	v_mul_f32_e32 v9, v15, v15
	v_fmac_f32_e32 v9, v14, v14
	v_div_scale_f32 v20, s[30:31], v9, v9, 1.0
	v_rcp_f32_e32 v21, v20
	v_div_scale_f32 v22, vcc, 1.0, v9, 1.0
	v_pk_add_f32 v[16:17], v[16:17], v[18:19]
	v_fma_f32 v23, -v20, v21, 1.0
	v_fmac_f32_e32 v21, v23, v21
	v_mul_f32_e32 v23, v22, v21
	v_fma_f32 v33, -v20, v23, v22
	v_fmac_f32_e32 v23, v33, v21
	v_fma_f32 v20, -v20, v23, v22
	v_div_fmas_f32 v20, v20, v21, v23
	v_div_fixup_f32 v9, v20, v9, 1.0
	v_fma_f32 v20, 0, v15, v14
	v_fma_f32 v14, v14, 0, -v15
	v_mul_f32_e32 v14, v14, v9
	v_pk_add_f32 v[12:13], v[12:13], v[16:17] neg_lo:[0,1] neg_hi:[0,1]
	v_mul_f32_e32 v20, v20, v9
	v_pk_mul_f32 v[14:15], v[14:15], v[12:13] op_sel:[0,1] op_sel_hi:[0,0] neg_lo:[0,1]
	v_pk_fma_f32 v[12:13], v[12:13], v[20:21], v[14:15] op_sel_hi:[1,0,1]
	v_xor_b32_e32 v14, 0x80000000, v13
	v_pk_fma_f32 v[0:1], v[12:13], v[12:13], v[0:1] op_sel:[1,0,0] op_sel_hi:[0,0,1]
	v_mov_b32_e32 v15, v13
	v_pk_fma_f32 v[0:1], v[12:13], v[14:15], v[0:1]
	global_store_dwordx2 v[10:11], v[12:13], off
	s_branch .LBB38_3
.LBB38_34:
	s_or_b64 exec, exec, s[26:27]
.LBB38_35:
	s_or_b64 exec, exec, s[22:23]
	v_cmp_eq_u32_e64 s[0:1], 63, v5
	v_cmp_lt_i32_e32 vcc, -1, v6
	s_and_b64 s[2:3], s[0:1], vcc
	s_and_saveexec_b64 s[6:7], s[2:3]
	s_cbranch_execz .LBB38_52
; %bb.36:
	v_mov_b32_e32 v7, 0
	v_lshlrev_b64 v[6:7], 3, v[6:7]
	v_mov_b32_e32 v5, s9
	v_add_co_u32_e32 v6, vcc, s8, v6
	v_addc_co_u32_e32 v7, vcc, v5, v7, vcc
	global_load_dwordx2 v[8:9], v[6:7], off
	v_mul_f64 v[10:11], s[14:15], s[14:15]
	v_add_u32_e32 v4, s33, v4
	s_waitcnt vmcnt(0)
	v_pk_add_f32 v[0:1], v[8:9], v[0:1] op_sel:[1,0] op_sel_hi:[0,1] neg_lo:[0,1] neg_hi:[0,1]
	v_cvt_f64_f32_e32 v[8:9], v1
	v_cmp_eq_f32_e64 s[2:3], 0, v0
	v_cmp_ge_f64_e64 s[4:5], v[10:11], v[8:9]
	v_cmp_neq_f32_e32 vcc, 0, v0
	s_and_b64 s[2:3], s[2:3], s[4:5]
	s_and_saveexec_b64 s[4:5], s[2:3]
	s_cbranch_execz .LBB38_41
; %bb.37:
	s_mov_b64 s[2:3], exec
	s_brev_b32 s8, -2
.LBB38_38:                              ; =>This Inner Loop Header: Depth=1
	s_ff1_i32_b64 s9, s[2:3]
	v_readlane_b32 s14, v4, s9
	s_lshl_b64 s[10:11], 1, s9
	s_min_i32 s8, s8, s14
	s_andn2_b64 s[2:3], s[2:3], s[10:11]
	s_cmp_lg_u64 s[2:3], 0
	s_cbranch_scc1 .LBB38_38
; %bb.39:
	v_mbcnt_lo_u32_b32 v5, exec_lo, 0
	v_mbcnt_hi_u32_b32 v5, exec_hi, v5
	v_cmp_eq_u32_e64 s[2:3], 0, v5
	s_and_saveexec_b64 s[10:11], s[2:3]
	s_xor_b64 s[10:11], exec, s[10:11]
	s_cbranch_execz .LBB38_41
; %bb.40:
	v_mov_b32_e32 v5, 0
	v_mov_b32_e32 v8, s8
	global_atomic_smin v5, v8, s[18:19]
.LBB38_41:
	s_or_b64 exec, exec, s[4:5]
	v_cmp_gt_f32_e64 s[2:3], 0, v0
	v_cndmask_b32_e64 v0, v0, -v0, s[2:3]
	v_cmp_gt_f32_e64 s[2:3], 0, v1
	v_cndmask_b32_e64 v1, v1, -v1, s[2:3]
	v_cmp_ngt_f32_e64 s[2:3], v1, v0
                                        ; implicit-def: $vgpr5
	s_and_saveexec_b64 s[4:5], s[2:3]
	s_xor_b64 s[4:5], exec, s[4:5]
	s_cbranch_execz .LBB38_45
; %bb.42:
	v_mov_b32_e32 v5, 0
	s_and_saveexec_b64 s[8:9], vcc
	s_cbranch_execz .LBB38_44
; %bb.43:
	v_div_scale_f32 v5, s[2:3], v0, v0, v1
	v_rcp_f32_e32 v8, v5
	v_div_scale_f32 v9, vcc, v1, v0, v1
	s_mov_b32 s2, 0xf800000
	v_fma_f32 v10, -v5, v8, 1.0
	v_fmac_f32_e32 v8, v10, v8
	v_mul_f32_e32 v10, v9, v8
	v_fma_f32 v11, -v5, v10, v9
	v_fmac_f32_e32 v10, v11, v8
	v_fma_f32 v5, -v5, v10, v9
	v_div_fmas_f32 v5, v5, v8, v10
	v_div_fixup_f32 v1, v5, v0, v1
	v_fma_f32 v1, v1, v1, 1.0
	v_mul_f32_e32 v5, 0x4f800000, v1
	v_cmp_gt_f32_e32 vcc, s2, v1
	v_cndmask_b32_e32 v1, v1, v5, vcc
	v_sqrt_f32_e32 v5, v1
	v_add_u32_e32 v8, -1, v5
	v_fma_f32 v9, -v8, v5, v1
	v_cmp_ge_f32_e64 s[2:3], 0, v9
	v_add_u32_e32 v9, 1, v5
	v_cndmask_b32_e64 v8, v5, v8, s[2:3]
	v_fma_f32 v5, -v9, v5, v1
	v_cmp_lt_f32_e64 s[2:3], 0, v5
	v_cndmask_b32_e64 v5, v8, v9, s[2:3]
	v_mul_f32_e32 v8, 0x37800000, v5
	v_cndmask_b32_e32 v5, v5, v8, vcc
	v_mov_b32_e32 v8, 0x260
	v_cmp_class_f32_e32 vcc, v1, v8
	v_cndmask_b32_e32 v1, v5, v1, vcc
	v_mul_f32_e32 v5, v0, v1
.LBB38_44:
	s_or_b64 exec, exec, s[8:9]
                                        ; implicit-def: $vgpr1
                                        ; implicit-def: $vgpr0
.LBB38_45:
	s_andn2_saveexec_b64 s[4:5], s[4:5]
	s_cbranch_execz .LBB38_47
; %bb.46:
	v_div_scale_f32 v5, s[2:3], v1, v1, v0
	v_rcp_f32_e32 v8, v5
	v_div_scale_f32 v9, vcc, v0, v1, v0
	s_mov_b32 s2, 0xf800000
	v_fma_f32 v10, -v5, v8, 1.0
	v_fmac_f32_e32 v8, v10, v8
	v_mul_f32_e32 v10, v9, v8
	v_fma_f32 v11, -v5, v10, v9
	v_fmac_f32_e32 v10, v11, v8
	v_fma_f32 v5, -v5, v10, v9
	v_div_fmas_f32 v5, v5, v8, v10
	v_div_fixup_f32 v0, v5, v1, v0
	v_fma_f32 v0, v0, v0, 1.0
	v_mul_f32_e32 v5, 0x4f800000, v0
	v_cmp_gt_f32_e32 vcc, s2, v0
	v_cndmask_b32_e32 v0, v0, v5, vcc
	v_sqrt_f32_e32 v5, v0
	v_add_u32_e32 v8, -1, v5
	v_fma_f32 v9, -v8, v5, v0
	v_cmp_ge_f32_e64 s[2:3], 0, v9
	v_add_u32_e32 v9, 1, v5
	v_cndmask_b32_e64 v8, v5, v8, s[2:3]
	v_fma_f32 v5, -v9, v5, v0
	v_cmp_lt_f32_e64 s[2:3], 0, v5
	v_cndmask_b32_e64 v5, v8, v9, s[2:3]
	v_mul_f32_e32 v8, 0x37800000, v5
	v_cndmask_b32_e32 v5, v5, v8, vcc
	v_mov_b32_e32 v8, 0x260
	v_cmp_class_f32_e32 vcc, v0, v8
	v_cndmask_b32_e32 v0, v5, v0, vcc
	v_mul_f32_e32 v5, v1, v0
.LBB38_47:
	s_or_b64 exec, exec, s[4:5]
	s_mov_b32 s2, 0xf800000
	v_mul_f32_e32 v0, 0x4f800000, v5
	v_cmp_gt_f32_e32 vcc, s2, v5
	v_cndmask_b32_e32 v0, v5, v0, vcc
	v_sqrt_f32_e32 v1, v0
	v_add_u32_e32 v5, -1, v1
	v_fma_f32 v8, -v5, v1, v0
	v_cmp_ge_f32_e64 s[2:3], 0, v8
	v_add_u32_e32 v8, 1, v1
	v_cndmask_b32_e64 v5, v1, v5, s[2:3]
	v_fma_f32 v1, -v8, v1, v0
	v_cmp_lt_f32_e64 s[2:3], 0, v1
	v_cndmask_b32_e64 v1, v5, v8, s[2:3]
	v_mul_f32_e32 v5, 0x37800000, v1
	v_cndmask_b32_e32 v1, v1, v5, vcc
	v_mov_b32_e32 v5, 0x260
	v_cmp_class_f32_e32 vcc, v0, v5
	v_cndmask_b32_e32 v0, v1, v0, vcc
	v_mov_b32_e32 v1, 0
	v_cmp_eq_f32_e32 vcc, 0, v0
	global_store_dwordx2 v[6:7], v[0:1], off
	s_and_b64 exec, exec, vcc
	s_cbranch_execz .LBB38_52
; %bb.48:
	s_mov_b64 s[2:3], exec
	s_brev_b32 s4, -2
.LBB38_49:                              ; =>This Inner Loop Header: Depth=1
	s_ff1_i32_b64 s5, s[2:3]
	v_readlane_b32 s10, v4, s5
	s_lshl_b64 s[8:9], 1, s5
	s_min_i32 s4, s4, s10
	s_andn2_b64 s[2:3], s[2:3], s[8:9]
	s_cmp_lg_u64 s[2:3], 0
	s_cbranch_scc1 .LBB38_49
; %bb.50:
	v_mbcnt_lo_u32_b32 v0, exec_lo, 0
	v_mbcnt_hi_u32_b32 v0, exec_hi, v0
	v_cmp_eq_u32_e32 vcc, 0, v0
	s_and_saveexec_b64 s[2:3], vcc
	s_xor_b64 s[2:3], exec, s[2:3]
	s_cbranch_execz .LBB38_52
; %bb.51:
	v_mov_b32_e32 v0, 0
	v_mov_b32_e32 v1, s4
	global_atomic_smin v0, v1, s[16:17]
.LBB38_52:
	s_or_b64 exec, exec, s[6:7]
	s_and_b64 exec, exec, s[0:1]
	s_cbranch_execz .LBB38_54
; %bb.53:
	v_mov_b32_e32 v1, s13
	v_add_co_u32_e32 v0, vcc, s12, v2
	v_addc_co_u32_e32 v1, vcc, v1, v3, vcc
	v_mov_b32_e32 v2, 1
	s_waitcnt vmcnt(0)
	global_store_dword v[0:1], v2, off
.LBB38_54:
	s_endpgm
	.section	.rodata,"a",@progbits
	.p2align	6, 0x0
	.amdhsa_kernel _ZN9rocsparseL23csric0_binsearch_kernelILj256ELj64ELb0E21rocsparse_complex_numIfEEEviPKiS4_PT2_S4_PiS4_S7_S7_d21rocsparse_index_base_
		.amdhsa_group_segment_fixed_size 0
		.amdhsa_private_segment_fixed_size 0
		.amdhsa_kernarg_size 84
		.amdhsa_user_sgpr_count 6
		.amdhsa_user_sgpr_private_segment_buffer 1
		.amdhsa_user_sgpr_dispatch_ptr 0
		.amdhsa_user_sgpr_queue_ptr 0
		.amdhsa_user_sgpr_kernarg_segment_ptr 1
		.amdhsa_user_sgpr_dispatch_id 0
		.amdhsa_user_sgpr_flat_scratch_init 0
		.amdhsa_user_sgpr_kernarg_preload_length 0
		.amdhsa_user_sgpr_kernarg_preload_offset 0
		.amdhsa_user_sgpr_private_segment_size 0
		.amdhsa_uses_dynamic_stack 0
		.amdhsa_system_sgpr_private_segment_wavefront_offset 0
		.amdhsa_system_sgpr_workgroup_id_x 1
		.amdhsa_system_sgpr_workgroup_id_y 0
		.amdhsa_system_sgpr_workgroup_id_z 0
		.amdhsa_system_sgpr_workgroup_info 0
		.amdhsa_system_vgpr_workitem_id 0
		.amdhsa_next_free_vgpr 40
		.amdhsa_next_free_sgpr 38
		.amdhsa_accum_offset 40
		.amdhsa_reserve_vcc 1
		.amdhsa_reserve_flat_scratch 0
		.amdhsa_float_round_mode_32 0
		.amdhsa_float_round_mode_16_64 0
		.amdhsa_float_denorm_mode_32 3
		.amdhsa_float_denorm_mode_16_64 3
		.amdhsa_dx10_clamp 1
		.amdhsa_ieee_mode 1
		.amdhsa_fp16_overflow 0
		.amdhsa_tg_split 0
		.amdhsa_exception_fp_ieee_invalid_op 0
		.amdhsa_exception_fp_denorm_src 0
		.amdhsa_exception_fp_ieee_div_zero 0
		.amdhsa_exception_fp_ieee_overflow 0
		.amdhsa_exception_fp_ieee_underflow 0
		.amdhsa_exception_fp_ieee_inexact 0
		.amdhsa_exception_int_div_zero 0
	.end_amdhsa_kernel
	.section	.text._ZN9rocsparseL23csric0_binsearch_kernelILj256ELj64ELb0E21rocsparse_complex_numIfEEEviPKiS4_PT2_S4_PiS4_S7_S7_d21rocsparse_index_base_,"axG",@progbits,_ZN9rocsparseL23csric0_binsearch_kernelILj256ELj64ELb0E21rocsparse_complex_numIfEEEviPKiS4_PT2_S4_PiS4_S7_S7_d21rocsparse_index_base_,comdat
.Lfunc_end38:
	.size	_ZN9rocsparseL23csric0_binsearch_kernelILj256ELj64ELb0E21rocsparse_complex_numIfEEEviPKiS4_PT2_S4_PiS4_S7_S7_d21rocsparse_index_base_, .Lfunc_end38-_ZN9rocsparseL23csric0_binsearch_kernelILj256ELj64ELb0E21rocsparse_complex_numIfEEEviPKiS4_PT2_S4_PiS4_S7_S7_d21rocsparse_index_base_
                                        ; -- End function
	.section	.AMDGPU.csdata,"",@progbits
; Kernel info:
; codeLenInByte = 2460
; NumSgprs: 42
; NumVgprs: 40
; NumAgprs: 0
; TotalNumVgprs: 40
; ScratchSize: 0
; MemoryBound: 0
; FloatMode: 240
; IeeeMode: 1
; LDSByteSize: 0 bytes/workgroup (compile time only)
; SGPRBlocks: 5
; VGPRBlocks: 4
; NumSGPRsForWavesPerEU: 42
; NumVGPRsForWavesPerEU: 40
; AccumOffset: 40
; Occupancy: 8
; WaveLimiterHint : 1
; COMPUTE_PGM_RSRC2:SCRATCH_EN: 0
; COMPUTE_PGM_RSRC2:USER_SGPR: 6
; COMPUTE_PGM_RSRC2:TRAP_HANDLER: 0
; COMPUTE_PGM_RSRC2:TGID_X_EN: 1
; COMPUTE_PGM_RSRC2:TGID_Y_EN: 0
; COMPUTE_PGM_RSRC2:TGID_Z_EN: 0
; COMPUTE_PGM_RSRC2:TIDIG_COMP_CNT: 0
; COMPUTE_PGM_RSRC3_GFX90A:ACCUM_OFFSET: 9
; COMPUTE_PGM_RSRC3_GFX90A:TG_SPLIT: 0
	.section	.text._ZN9rocsparseL23csric0_binsearch_kernelILj256ELj64ELb1E21rocsparse_complex_numIdEEEviPKiS4_PT2_S4_PiS4_S7_S7_d21rocsparse_index_base_,"axG",@progbits,_ZN9rocsparseL23csric0_binsearch_kernelILj256ELj64ELb1E21rocsparse_complex_numIdEEEviPKiS4_PT2_S4_PiS4_S7_S7_d21rocsparse_index_base_,comdat
	.globl	_ZN9rocsparseL23csric0_binsearch_kernelILj256ELj64ELb1E21rocsparse_complex_numIdEEEviPKiS4_PT2_S4_PiS4_S7_S7_d21rocsparse_index_base_ ; -- Begin function _ZN9rocsparseL23csric0_binsearch_kernelILj256ELj64ELb1E21rocsparse_complex_numIdEEEviPKiS4_PT2_S4_PiS4_S7_S7_d21rocsparse_index_base_
	.p2align	8
	.type	_ZN9rocsparseL23csric0_binsearch_kernelILj256ELj64ELb1E21rocsparse_complex_numIdEEEviPKiS4_PT2_S4_PiS4_S7_S7_d21rocsparse_index_base_,@function
_ZN9rocsparseL23csric0_binsearch_kernelILj256ELj64ELb1E21rocsparse_complex_numIdEEEviPKiS4_PT2_S4_PiS4_S7_S7_d21rocsparse_index_base_: ; @_ZN9rocsparseL23csric0_binsearch_kernelILj256ELj64ELb1E21rocsparse_complex_numIdEEEviPKiS4_PT2_S4_PiS4_S7_S7_d21rocsparse_index_base_
; %bb.0:
	s_load_dword s0, s[4:5], 0x0
	s_lshl_b32 s1, s6, 2
	v_lshrrev_b32_e32 v1, 6, v0
	s_and_b32 s1, s1, 0x3fffffc
	v_or_b32_e32 v1, s1, v1
	s_waitcnt lgkmcnt(0)
	v_cmp_gt_i32_e32 vcc, s0, v1
	s_and_saveexec_b64 s[0:1], vcc
	s_cbranch_execz .LBB39_55
; %bb.1:
	s_load_dwordx8 s[8:15], s[4:5], 0x18
	v_lshlrev_b32_e32 v1, 2, v1
	v_pk_mov_b32 v[14:15], 0, 0
	s_mov_b64 s[20:21], 0
	v_pk_mov_b32 v[16:17], v[14:15], v[14:15] op_sel:[0,1]
	s_waitcnt lgkmcnt(0)
	global_load_dword v10, v1, s[14:15]
	s_load_dwordx2 s[14:15], s[4:5], 0x8
	v_mov_b32_e32 v1, s11
	s_waitcnt lgkmcnt(0)
	v_mov_b32_e32 v3, s15
	s_waitcnt vmcnt(0)
	v_ashrrev_i32_e32 v11, 31, v10
	v_lshlrev_b64 v[8:9], 2, v[10:11]
	v_add_co_u32_e32 v4, vcc, s10, v8
	v_addc_co_u32_e32 v5, vcc, v1, v9, vcc
	v_add_co_u32_e32 v2, vcc, s14, v8
	v_addc_co_u32_e32 v3, vcc, v3, v9, vcc
	global_load_dword v1, v[2:3], off
	global_load_dword v12, v[4:5], off
	s_load_dword s33, s[4:5], 0x50
	s_load_dwordx4 s[16:19], s[4:5], 0x38
	s_load_dwordx2 s[6:7], s[4:5], 0x48
	v_and_b32_e32 v11, 63, v0
	s_waitcnt vmcnt(1) lgkmcnt(0)
	v_subrev_u32_e32 v13, s33, v1
	s_waitcnt vmcnt(0)
	v_cmp_lt_i32_e32 vcc, v13, v12
	s_and_saveexec_b64 s[22:23], vcc
	s_cbranch_execz .LBB39_36
; %bb.2:
	global_load_dword v0, v[2:3], off offset:4
	s_load_dwordx2 s[24:25], s[4:5], 0x10
	v_pk_mov_b32 v[14:15], 0, 0
	v_add_u32_e32 v32, -1, v12
	v_cmp_eq_u32_e64 s[0:1], 0, v11
	v_subrev_u32_e32 v33, s33, v11
	v_cmp_eq_u32_e64 s[2:3], 63, v11
	v_mov_b32_e32 v34, s9
	v_mov_b32_e32 v35, s15
	;; [unrolled: 1-line block ×6, first 2 shown]
	s_waitcnt lgkmcnt(0)
	v_mov_b32_e32 v39, s25
	v_pk_mov_b32 v[16:17], v[14:15], v[14:15] op_sel:[0,1]
	s_waitcnt vmcnt(0)
	v_xad_u32 v40, s33, -1, v0
	s_branch .LBB39_5
.LBB39_3:                               ;   in Loop: Header=BB39_5 Depth=1
	s_or_b64 exec, exec, s[28:29]
.LBB39_4:                               ;   in Loop: Header=BB39_5 Depth=1
	s_or_b64 exec, exec, s[4:5]
	v_add_u32_e32 v18, 1, v18
	v_cmp_ge_i32_e32 vcc, v18, v12
	s_or_b64 s[4:5], s[26:27], vcc
	s_and_b64 s[4:5], exec, s[4:5]
	s_or_b64 s[20:21], s[4:5], s[20:21]
	s_andn2_b64 exec, exec, s[20:21]
	s_cbranch_execz .LBB39_35
.LBB39_5:                               ; =>This Loop Header: Depth=1
                                        ;     Child Loop BB39_8 Depth 2
                                        ;       Child Loop BB39_9 Depth 3
                                        ;     Child Loop BB39_13 Depth 2
                                        ;     Child Loop BB39_19 Depth 2
                                        ;       Child Loop BB39_21 Depth 3
                                        ;     Child Loop BB39_32 Depth 2
	v_ashrrev_i32_e32 v19, 31, v18
	v_lshlrev_b64 v[0:1], 2, v[18:19]
	v_add_co_u32_e32 v0, vcc, s24, v0
	v_addc_co_u32_e32 v1, vcc, v39, v1, vcc
	global_load_dword v24, v[0:1], off
	v_lshlrev_b64 v[0:1], 4, v[18:19]
	v_add_co_u32_e32 v20, vcc, s8, v0
	v_addc_co_u32_e32 v21, vcc, v34, v1, vcc
	global_load_dwordx4 v[0:3], v[20:21], off
	s_waitcnt vmcnt(1)
	v_subrev_u32_e32 v4, s33, v24
	v_ashrrev_i32_e32 v5, 31, v4
	v_lshlrev_b64 v[4:5], 2, v[4:5]
	v_add_co_u32_e32 v22, vcc, s14, v4
	v_addc_co_u32_e32 v23, vcc, v35, v5, vcc
	v_add_co_u32_e32 v26, vcc, s10, v4
	v_addc_co_u32_e32 v27, vcc, v36, v5, vcc
	;; [unrolled: 2-line block ×3, first 2 shown]
	global_load_dword v19, v[22:23], off
	global_load_dword v6, v[26:27], off
	global_load_dword v7, v[4:5], off glc
	s_waitcnt vmcnt(0)
	v_cmp_eq_u32_e32 vcc, 0, v7
	s_and_saveexec_b64 s[4:5], vcc
	s_cbranch_execz .LBB39_10
; %bb.6:                                ;   in Loop: Header=BB39_5 Depth=1
	s_mov_b32 s11, 0
	s_mov_b64 s[26:27], 0
	s_branch .LBB39_8
.LBB39_7:                               ;   in Loop: Header=BB39_8 Depth=2
	global_load_dword v7, v[4:5], off glc
	s_cmpk_lt_u32 s11, 0xf43
	s_cselect_b64 s[28:29], -1, 0
	s_cmp_lg_u64 s[28:29], 0
	s_addc_u32 s11, s11, 0
	s_waitcnt vmcnt(0)
	v_cmp_ne_u32_e32 vcc, 0, v7
	s_or_b64 s[26:27], vcc, s[26:27]
	s_andn2_b64 exec, exec, s[26:27]
	s_cbranch_execz .LBB39_10
.LBB39_8:                               ;   Parent Loop BB39_5 Depth=1
                                        ; =>  This Loop Header: Depth=2
                                        ;       Child Loop BB39_9 Depth 3
	s_cmp_eq_u32 s11, 0
	s_mov_b32 s15, s11
	s_cbranch_scc1 .LBB39_7
.LBB39_9:                               ;   Parent Loop BB39_5 Depth=1
                                        ;     Parent Loop BB39_8 Depth=2
                                        ; =>    This Inner Loop Header: Depth=3
	s_add_i32 s15, s15, -1
	s_cmp_eq_u32 s15, 0
	s_sleep 1
	s_cbranch_scc0 .LBB39_9
	s_branch .LBB39_7
.LBB39_10:                              ;   in Loop: Header=BB39_5 Depth=1
	s_or_b64 exec, exec, s[4:5]
	v_cmp_eq_u32_e32 vcc, -1, v6
	v_cndmask_b32_e32 v22, v6, v32, vcc
	v_ashrrev_i32_e32 v23, 31, v22
	v_lshlrev_b64 v[4:5], 4, v[22:23]
	v_add_co_u32_e32 v4, vcc, s8, v4
	v_addc_co_u32_e32 v5, vcc, v34, v5, vcc
	buffer_wbinvl1_vol
	global_load_dwordx4 v[4:7], v[4:5], off
	s_waitcnt vmcnt(0)
	v_cmp_eq_f64_e64 s[4:5], 0, v[4:5]
	v_cmp_eq_f64_e32 vcc, 0, v[6:7]
	s_and_b64 s[26:27], s[4:5], vcc
	s_xor_b64 s[4:5], s[26:27], -1
	s_and_saveexec_b64 s[28:29], s[4:5]
	s_xor_b64 s[28:29], exec, s[28:29]
	s_cbranch_execz .LBB39_29
; %bb.11:                               ;   in Loop: Header=BB39_5 Depth=1
	v_cmp_ge_f64_e64 s[4:5], s[6:7], v[4:5]
	s_and_b64 s[4:5], s[0:1], s[4:5]
	s_and_b64 s[30:31], vcc, s[4:5]
	s_and_saveexec_b64 s[4:5], s[30:31]
	s_cbranch_execz .LBB39_16
; %bb.12:                               ;   in Loop: Header=BB39_5 Depth=1
	s_mov_b64 s[30:31], exec
	s_brev_b32 s11, -2
.LBB39_13:                              ;   Parent Loop BB39_5 Depth=1
                                        ; =>  This Inner Loop Header: Depth=2
	s_ff1_i32_b64 s15, s[30:31]
	v_readlane_b32 s36, v24, s15
	s_lshl_b64 s[34:35], 1, s15
	s_min_i32 s11, s11, s36
	s_andn2_b64 s[30:31], s[30:31], s[34:35]
	s_cmp_lg_u64 s[30:31], 0
	s_cbranch_scc1 .LBB39_13
; %bb.14:                               ;   in Loop: Header=BB39_5 Depth=1
	v_mbcnt_lo_u32_b32 v23, exec_lo, 0
	v_mbcnt_hi_u32_b32 v23, exec_hi, v23
	v_cmp_eq_u32_e32 vcc, 0, v23
	s_and_saveexec_b64 s[30:31], vcc
	s_xor_b64 s[30:31], exec, s[30:31]
	s_cbranch_execz .LBB39_16
; %bb.15:                               ;   in Loop: Header=BB39_5 Depth=1
	v_mov_b32_e32 v23, s11
	global_atomic_smin v38, v23, s[18:19]
.LBB39_16:                              ;   in Loop: Header=BB39_5 Depth=1
	s_or_b64 exec, exec, s[4:5]
	v_add_u32_e32 v28, v33, v19
	v_pk_mov_b32 v[24:25], 0, 0
	v_cmp_lt_i32_e32 vcc, v28, v22
	v_pk_mov_b32 v[26:27], v[24:25], v[24:25] op_sel:[0,1]
	s_and_saveexec_b64 s[4:5], vcc
	s_cbranch_execz .LBB39_26
; %bb.17:                               ;   in Loop: Header=BB39_5 Depth=1
	v_pk_mov_b32 v[24:25], 0, 0
	s_mov_b64 s[30:31], 0
	v_mov_b32_e32 v19, v13
	v_pk_mov_b32 v[26:27], v[24:25], v[24:25] op_sel:[0,1]
	s_branch .LBB39_19
.LBB39_18:                              ;   in Loop: Header=BB39_19 Depth=2
	s_or_b64 exec, exec, s[34:35]
	v_add_u32_e32 v28, 64, v28
	v_cmp_ge_i32_e32 vcc, v28, v22
	s_or_b64 s[30:31], vcc, s[30:31]
	s_andn2_b64 exec, exec, s[30:31]
	s_cbranch_execz .LBB39_25
.LBB39_19:                              ;   Parent Loop BB39_5 Depth=1
                                        ; =>  This Loop Header: Depth=2
                                        ;       Child Loop BB39_21 Depth 3
	v_ashrrev_i32_e32 v29, 31, v28
	v_add_u32_e32 v23, v19, v40
	v_lshlrev_b64 v[30:31], 2, v[28:29]
	v_mov_b32_e32 v41, s25
	v_add_co_u32_e32 v42, vcc, s24, v30
	v_ashrrev_i32_e32 v30, 1, v23
	v_addc_co_u32_e32 v43, vcc, v41, v31, vcc
	v_ashrrev_i32_e32 v31, 31, v30
	v_lshlrev_b64 v[44:45], 2, v[30:31]
	v_add_co_u32_e32 v44, vcc, s24, v44
	v_addc_co_u32_e32 v45, vcc, v41, v45, vcc
	global_load_dword v23, v[42:43], off
	global_load_dword v41, v[44:45], off
	v_cmp_lt_i32_e32 vcc, v19, v40
	s_and_saveexec_b64 s[34:35], vcc
	s_cbranch_execz .LBB39_23
; %bb.20:                               ;   in Loop: Header=BB39_19 Depth=2
	s_mov_b64 s[36:37], 0
	v_mov_b32_e32 v42, v40
.LBB39_21:                              ;   Parent Loop BB39_5 Depth=1
                                        ;     Parent Loop BB39_19 Depth=2
                                        ; =>    This Inner Loop Header: Depth=3
	v_add_u32_e32 v31, 1, v30
	s_waitcnt vmcnt(0)
	v_cmp_lt_i32_e32 vcc, v41, v23
	v_cndmask_b32_e32 v42, v30, v42, vcc
	v_cndmask_b32_e32 v19, v19, v31, vcc
	v_add_u32_e32 v30, v42, v19
	v_ashrrev_i32_e32 v30, 1, v30
	v_ashrrev_i32_e32 v31, 31, v30
	v_lshlrev_b64 v[44:45], 2, v[30:31]
	v_mov_b32_e32 v41, s25
	v_add_co_u32_e32 v44, vcc, s24, v44
	v_addc_co_u32_e32 v45, vcc, v41, v45, vcc
	global_load_dword v41, v[44:45], off
	v_cmp_ge_i32_e32 vcc, v19, v42
	s_or_b64 s[36:37], vcc, s[36:37]
	s_andn2_b64 exec, exec, s[36:37]
	s_cbranch_execnz .LBB39_21
; %bb.22:                               ;   in Loop: Header=BB39_19 Depth=2
	s_or_b64 exec, exec, s[36:37]
.LBB39_23:                              ;   in Loop: Header=BB39_19 Depth=2
	s_or_b64 exec, exec, s[34:35]
	s_waitcnt vmcnt(0)
	v_cmp_eq_u32_e32 vcc, v41, v23
	s_and_saveexec_b64 s[34:35], vcc
	s_cbranch_execz .LBB39_18
; %bb.24:                               ;   in Loop: Header=BB39_19 Depth=2
	v_lshlrev_b64 v[42:43], 4, v[28:29]
	v_mov_b32_e32 v23, s9
	v_add_co_u32_e32 v50, vcc, s8, v42
	v_addc_co_u32_e32 v51, vcc, v23, v43, vcc
	v_lshlrev_b64 v[30:31], 4, v[30:31]
	v_add_co_u32_e32 v30, vcc, s8, v30
	v_addc_co_u32_e32 v31, vcc, v23, v31, vcc
	global_load_dwordx4 v[42:45], v[50:51], off
	global_load_dwordx4 v[46:49], v[30:31], off
	s_waitcnt vmcnt(0)
	v_fmac_f64_e32 v[26:27], v[42:43], v[46:47]
	v_fmac_f64_e32 v[24:25], v[44:45], v[46:47]
	;; [unrolled: 1-line block ×3, first 2 shown]
	v_fma_f64 v[24:25], v[42:43], -v[48:49], v[24:25]
	s_branch .LBB39_18
.LBB39_25:                              ;   in Loop: Header=BB39_5 Depth=1
	s_or_b64 exec, exec, s[30:31]
.LBB39_26:                              ;   in Loop: Header=BB39_5 Depth=1
	s_or_b64 exec, exec, s[4:5]
	v_mov_b32_dpp v22, v26 row_shr:1 row_mask:0xf bank_mask:0xf
	v_mov_b32_dpp v23, v27 row_shr:1 row_mask:0xf bank_mask:0xf
	v_mov_b32_dpp v28, v24 row_shr:1 row_mask:0xf bank_mask:0xf
	v_mov_b32_dpp v29, v25 row_shr:1 row_mask:0xf bank_mask:0xf
	v_add_f64 v[22:23], v[26:27], v[22:23]
	v_add_f64 v[24:25], v[24:25], v[28:29]
	s_nop 0
	v_mov_b32_dpp v26, v22 row_shr:2 row_mask:0xf bank_mask:0xf
	v_mov_b32_dpp v27, v23 row_shr:2 row_mask:0xf bank_mask:0xf
	v_mov_b32_dpp v28, v24 row_shr:2 row_mask:0xf bank_mask:0xf
	v_mov_b32_dpp v29, v25 row_shr:2 row_mask:0xf bank_mask:0xf
	v_add_f64 v[22:23], v[22:23], v[26:27]
	v_add_f64 v[24:25], v[24:25], v[28:29]
	s_nop 0
	;; [unrolled: 7-line block ×4, first 2 shown]
	v_mov_b32_dpp v26, v22 row_bcast:15 row_mask:0xa bank_mask:0xf
	v_mov_b32_dpp v27, v23 row_bcast:15 row_mask:0xa bank_mask:0xf
	;; [unrolled: 1-line block ×4, first 2 shown]
	v_add_f64 v[22:23], v[22:23], v[26:27]
	v_add_f64 v[24:25], v[24:25], v[28:29]
	s_nop 0
	v_mov_b32_dpp v26, v22 row_bcast:31 row_mask:0xc bank_mask:0xf
	v_mov_b32_dpp v27, v23 row_bcast:31 row_mask:0xc bank_mask:0xf
	;; [unrolled: 1-line block ×4, first 2 shown]
	s_and_saveexec_b64 s[4:5], s[2:3]
	s_cbranch_execz .LBB39_28
; %bb.27:                               ;   in Loop: Header=BB39_5 Depth=1
	v_mul_f64 v[30:31], v[6:7], v[6:7]
	v_fmac_f64_e32 v[30:31], v[4:5], v[4:5]
	v_div_scale_f64 v[42:43], s[30:31], v[30:31], v[30:31], 1.0
	v_rcp_f64_e32 v[44:45], v[42:43]
	v_div_scale_f64 v[46:47], vcc, 1.0, v[30:31], 1.0
	v_add_f64 v[22:23], v[22:23], v[26:27]
	v_fma_f64 v[48:49], -v[42:43], v[44:45], 1.0
	v_fmac_f64_e32 v[44:45], v[44:45], v[48:49]
	v_fma_f64 v[48:49], -v[42:43], v[44:45], 1.0
	v_fmac_f64_e32 v[44:45], v[44:45], v[48:49]
	v_mul_f64 v[48:49], v[46:47], v[44:45]
	v_fma_f64 v[42:43], -v[42:43], v[48:49], v[46:47]
	v_div_fmas_f64 v[42:43], v[42:43], v[44:45], v[48:49]
	v_div_fixup_f64 v[30:31], v[42:43], v[30:31], 1.0
	v_fma_f64 v[42:43], 0, v[6:7], v[4:5]
	v_fma_f64 v[4:5], v[4:5], 0, -v[6:7]
	v_add_f64 v[6:7], v[24:25], v[28:29]
	v_mul_f64 v[4:5], v[4:5], v[30:31]
	v_add_f64 v[22:23], v[0:1], -v[22:23]
	v_add_f64 v[6:7], v[2:3], -v[6:7]
	v_mul_f64 v[42:43], v[42:43], v[30:31]
	v_mul_f64 v[0:1], v[4:5], -v[6:7]
	v_mul_f64 v[2:3], v[4:5], v[22:23]
	v_fmac_f64_e32 v[0:1], v[22:23], v[42:43]
	v_fmac_f64_e32 v[2:3], v[6:7], v[42:43]
	;; [unrolled: 1-line block ×5, first 2 shown]
	v_fma_f64 v[14:15], v[0:1], -v[2:3], v[14:15]
	global_store_dwordx4 v[20:21], v[0:3], off
.LBB39_28:                              ;   in Loop: Header=BB39_5 Depth=1
	s_or_b64 exec, exec, s[4:5]
                                        ; implicit-def: $vgpr24
.LBB39_29:                              ;   in Loop: Header=BB39_5 Depth=1
	s_andn2_saveexec_b64 s[4:5], s[28:29]
	s_cbranch_execz .LBB39_4
; %bb.30:                               ;   in Loop: Header=BB39_5 Depth=1
	s_and_saveexec_b64 s[28:29], s[0:1]
	s_cbranch_execz .LBB39_3
; %bb.31:                               ;   in Loop: Header=BB39_5 Depth=1
	s_mov_b64 s[30:31], exec
	s_brev_b32 s11, -2
.LBB39_32:                              ;   Parent Loop BB39_5 Depth=1
                                        ; =>  This Inner Loop Header: Depth=2
	s_ff1_i32_b64 s15, s[30:31]
	v_readlane_b32 s36, v24, s15
	s_lshl_b64 s[34:35], 1, s15
	s_min_i32 s11, s11, s36
	s_andn2_b64 s[30:31], s[30:31], s[34:35]
	s_cmp_lg_u64 s[30:31], 0
	s_cbranch_scc1 .LBB39_32
; %bb.33:                               ;   in Loop: Header=BB39_5 Depth=1
	v_mbcnt_lo_u32_b32 v0, exec_lo, 0
	v_mbcnt_hi_u32_b32 v0, exec_hi, v0
	v_cmp_eq_u32_e32 vcc, 0, v0
	s_and_saveexec_b64 s[30:31], vcc
	s_xor_b64 s[30:31], exec, s[30:31]
	s_cbranch_execz .LBB39_3
; %bb.34:                               ;   in Loop: Header=BB39_5 Depth=1
	v_mov_b32_e32 v0, s11
	global_atomic_smin v38, v0, s[16:17]
	s_branch .LBB39_3
.LBB39_35:
	s_or_b64 exec, exec, s[20:21]
.LBB39_36:
	s_or_b64 exec, exec, s[22:23]
	v_cmp_eq_u32_e64 s[0:1], 63, v11
	v_cmp_lt_i32_e32 vcc, -1, v12
	s_and_b64 s[2:3], s[0:1], vcc
	s_and_saveexec_b64 s[10:11], s[2:3]
	s_cbranch_execz .LBB39_53
; %bb.37:
	v_mov_b32_e32 v13, 0
	v_lshlrev_b64 v[0:1], 4, v[12:13]
	v_mov_b32_e32 v2, s9
	v_add_co_u32_e32 v0, vcc, s8, v0
	v_addc_co_u32_e32 v1, vcc, v2, v1, vcc
	global_load_dwordx4 v[2:5], v[0:1], off
	v_mul_f64 v[6:7], s[6:7], s[6:7]
	s_waitcnt vmcnt(0)
	v_add_f64 v[2:3], v[2:3], -v[16:17]
	v_add_f64 v[4:5], v[4:5], -v[14:15]
	v_cmp_eq_f64_e64 s[2:3], 0, v[4:5]
	v_cmp_le_f64_e64 s[4:5], v[2:3], v[6:7]
	v_cmp_neq_f64_e32 vcc, 0, v[4:5]
	s_and_b64 s[2:3], s[2:3], s[4:5]
	s_and_saveexec_b64 s[4:5], s[2:3]
	s_cbranch_execz .LBB39_42
; %bb.38:
	s_mov_b64 s[2:3], exec
	v_add_u32_e32 v6, s33, v10
	s_brev_b32 s6, -2
.LBB39_39:                              ; =>This Inner Loop Header: Depth=1
	s_ff1_i32_b64 s7, s[2:3]
	v_readlane_b32 s14, v6, s7
	s_lshl_b64 s[8:9], 1, s7
	s_min_i32 s6, s6, s14
	s_andn2_b64 s[2:3], s[2:3], s[8:9]
	s_cmp_lg_u64 s[2:3], 0
	s_cbranch_scc1 .LBB39_39
; %bb.40:
	v_mbcnt_lo_u32_b32 v6, exec_lo, 0
	v_mbcnt_hi_u32_b32 v6, exec_hi, v6
	v_cmp_eq_u32_e64 s[2:3], 0, v6
	s_and_saveexec_b64 s[8:9], s[2:3]
	s_xor_b64 s[8:9], exec, s[8:9]
	s_cbranch_execz .LBB39_42
; %bb.41:
	v_mov_b32_e32 v6, 0
	v_mov_b32_e32 v7, s6
	global_atomic_smin v6, v7, s[18:19]
.LBB39_42:
	s_or_b64 exec, exec, s[4:5]
	v_xor_b32_e32 v6, 0x80000000, v3
	v_cmp_gt_f64_e64 s[2:3], 0, v[2:3]
	v_cndmask_b32_e64 v3, v3, v6, s[2:3]
	v_cndmask_b32_e64 v2, v2, v2, s[2:3]
	v_xor_b32_e32 v6, 0x80000000, v5
	v_cmp_gt_f64_e64 s[2:3], 0, v[4:5]
	v_cndmask_b32_e64 v5, v5, v6, s[2:3]
	v_cndmask_b32_e64 v4, v4, v4, s[2:3]
	v_cmp_ngt_f64_e64 s[2:3], v[2:3], v[4:5]
                                        ; implicit-def: $vgpr6_vgpr7
	s_and_saveexec_b64 s[4:5], s[2:3]
	s_xor_b64 s[2:3], exec, s[4:5]
	s_cbranch_execz .LBB39_46
; %bb.43:
	v_pk_mov_b32 v[6:7], 0, 0
	s_and_saveexec_b64 s[4:5], vcc
	s_cbranch_execz .LBB39_45
; %bb.44:
	v_div_scale_f64 v[6:7], s[6:7], v[4:5], v[4:5], v[2:3]
	v_rcp_f64_e32 v[12:13], v[6:7]
	v_div_scale_f64 v[14:15], vcc, v[2:3], v[4:5], v[2:3]
	s_mov_b32 s6, 0
	v_fma_f64 v[16:17], -v[6:7], v[12:13], 1.0
	v_fmac_f64_e32 v[12:13], v[12:13], v[16:17]
	v_fma_f64 v[16:17], -v[6:7], v[12:13], 1.0
	v_fmac_f64_e32 v[12:13], v[12:13], v[16:17]
	v_mul_f64 v[16:17], v[14:15], v[12:13]
	v_fma_f64 v[6:7], -v[6:7], v[16:17], v[14:15]
	v_div_fmas_f64 v[6:7], v[6:7], v[12:13], v[16:17]
	v_div_fixup_f64 v[2:3], v[6:7], v[4:5], v[2:3]
	v_fma_f64 v[2:3], v[2:3], v[2:3], 1.0
	s_brev_b32 s7, 8
	v_cmp_gt_f64_e32 vcc, s[6:7], v[2:3]
	v_cndmask_b32_e64 v6, 0, 1, vcc
	v_lshlrev_b32_e32 v6, 8, v6
	v_ldexp_f64 v[2:3], v[2:3], v6
	v_rsq_f64_e32 v[6:7], v[2:3]
	v_mov_b32_e32 v11, 0x260
	v_mul_f64 v[12:13], v[2:3], v[6:7]
	v_mul_f64 v[6:7], v[6:7], 0.5
	v_fma_f64 v[14:15], -v[6:7], v[12:13], 0.5
	v_fmac_f64_e32 v[12:13], v[12:13], v[14:15]
	v_fma_f64 v[16:17], -v[12:13], v[12:13], v[2:3]
	v_fmac_f64_e32 v[6:7], v[6:7], v[14:15]
	v_fmac_f64_e32 v[12:13], v[16:17], v[6:7]
	v_fma_f64 v[14:15], -v[12:13], v[12:13], v[2:3]
	v_fmac_f64_e32 v[12:13], v[14:15], v[6:7]
	v_mov_b32_e32 v6, 0xffffff80
	v_cndmask_b32_e32 v6, 0, v6, vcc
	v_ldexp_f64 v[6:7], v[12:13], v6
	v_cmp_class_f64_e32 vcc, v[2:3], v11
	v_cndmask_b32_e32 v3, v7, v3, vcc
	v_cndmask_b32_e32 v2, v6, v2, vcc
	v_mul_f64 v[6:7], v[4:5], v[2:3]
.LBB39_45:
	s_or_b64 exec, exec, s[4:5]
                                        ; implicit-def: $vgpr2_vgpr3
                                        ; implicit-def: $vgpr4_vgpr5
.LBB39_46:
	s_andn2_saveexec_b64 s[2:3], s[2:3]
	s_cbranch_execz .LBB39_48
; %bb.47:
	v_div_scale_f64 v[6:7], s[4:5], v[2:3], v[2:3], v[4:5]
	v_rcp_f64_e32 v[12:13], v[6:7]
	v_div_scale_f64 v[14:15], vcc, v[4:5], v[2:3], v[4:5]
	s_mov_b32 s4, 0
	v_fma_f64 v[16:17], -v[6:7], v[12:13], 1.0
	v_fmac_f64_e32 v[12:13], v[12:13], v[16:17]
	v_fma_f64 v[16:17], -v[6:7], v[12:13], 1.0
	v_fmac_f64_e32 v[12:13], v[12:13], v[16:17]
	v_mul_f64 v[16:17], v[14:15], v[12:13]
	v_fma_f64 v[6:7], -v[6:7], v[16:17], v[14:15]
	v_div_fmas_f64 v[6:7], v[6:7], v[12:13], v[16:17]
	v_div_fixup_f64 v[4:5], v[6:7], v[2:3], v[4:5]
	v_fma_f64 v[4:5], v[4:5], v[4:5], 1.0
	s_brev_b32 s5, 8
	v_cmp_gt_f64_e32 vcc, s[4:5], v[4:5]
	v_cndmask_b32_e64 v6, 0, 1, vcc
	v_lshlrev_b32_e32 v6, 8, v6
	v_ldexp_f64 v[4:5], v[4:5], v6
	v_rsq_f64_e32 v[6:7], v[4:5]
	v_mov_b32_e32 v11, 0x260
	v_mul_f64 v[12:13], v[4:5], v[6:7]
	v_mul_f64 v[6:7], v[6:7], 0.5
	v_fma_f64 v[14:15], -v[6:7], v[12:13], 0.5
	v_fmac_f64_e32 v[12:13], v[12:13], v[14:15]
	v_fma_f64 v[16:17], -v[12:13], v[12:13], v[4:5]
	v_fmac_f64_e32 v[6:7], v[6:7], v[14:15]
	v_fmac_f64_e32 v[12:13], v[16:17], v[6:7]
	v_fma_f64 v[14:15], -v[12:13], v[12:13], v[4:5]
	v_fmac_f64_e32 v[12:13], v[14:15], v[6:7]
	v_mov_b32_e32 v6, 0xffffff80
	v_cndmask_b32_e32 v6, 0, v6, vcc
	v_ldexp_f64 v[6:7], v[12:13], v6
	v_cmp_class_f64_e32 vcc, v[4:5], v11
	v_cndmask_b32_e32 v5, v7, v5, vcc
	v_cndmask_b32_e32 v4, v6, v4, vcc
	v_mul_f64 v[6:7], v[2:3], v[4:5]
.LBB39_48:
	s_or_b64 exec, exec, s[2:3]
	s_mov_b32 s2, 0
	s_brev_b32 s3, 8
	v_cmp_gt_f64_e32 vcc, s[2:3], v[6:7]
	v_cndmask_b32_e64 v2, 0, 1, vcc
	v_lshlrev_b32_e32 v2, 8, v2
	v_ldexp_f64 v[2:3], v[6:7], v2
	v_rsq_f64_e32 v[4:5], v[2:3]
	v_mul_f64 v[6:7], v[2:3], v[4:5]
	v_mul_f64 v[4:5], v[4:5], 0.5
	v_fma_f64 v[12:13], -v[4:5], v[6:7], 0.5
	v_fmac_f64_e32 v[6:7], v[6:7], v[12:13]
	v_fma_f64 v[14:15], -v[6:7], v[6:7], v[2:3]
	v_fmac_f64_e32 v[4:5], v[4:5], v[12:13]
	v_fmac_f64_e32 v[6:7], v[14:15], v[4:5]
	v_fma_f64 v[12:13], -v[6:7], v[6:7], v[2:3]
	v_fmac_f64_e32 v[6:7], v[12:13], v[4:5]
	v_mov_b32_e32 v5, 0xffffff80
	v_cndmask_b32_e32 v5, 0, v5, vcc
	v_ldexp_f64 v[6:7], v[6:7], v5
	v_mov_b32_e32 v5, 0x260
	v_cmp_class_f64_e32 vcc, v[2:3], v5
	v_mov_b32_e32 v4, 0
	v_cndmask_b32_e32 v3, v7, v3, vcc
	v_cndmask_b32_e32 v2, v6, v2, vcc
	v_mov_b32_e32 v5, v4
	v_cmp_eq_f64_e32 vcc, 0, v[2:3]
	global_store_dwordx4 v[0:1], v[2:5], off
	s_and_b64 exec, exec, vcc
	s_cbranch_execz .LBB39_53
; %bb.49:
	s_mov_b64 s[2:3], exec
	v_add_u32_e32 v0, s33, v10
	s_brev_b32 s4, -2
.LBB39_50:                              ; =>This Inner Loop Header: Depth=1
	s_ff1_i32_b64 s5, s[2:3]
	v_readlane_b32 s8, v0, s5
	s_lshl_b64 s[6:7], 1, s5
	s_min_i32 s4, s4, s8
	s_andn2_b64 s[2:3], s[2:3], s[6:7]
	s_cmp_lg_u64 s[2:3], 0
	s_cbranch_scc1 .LBB39_50
; %bb.51:
	v_mbcnt_lo_u32_b32 v0, exec_lo, 0
	v_mbcnt_hi_u32_b32 v0, exec_hi, v0
	v_cmp_eq_u32_e32 vcc, 0, v0
	s_and_saveexec_b64 s[2:3], vcc
	s_xor_b64 s[2:3], exec, s[2:3]
	s_cbranch_execz .LBB39_53
; %bb.52:
	v_mov_b32_e32 v0, 0
	v_mov_b32_e32 v1, s4
	global_atomic_smin v0, v1, s[16:17]
.LBB39_53:
	s_or_b64 exec, exec, s[10:11]
	s_and_b64 exec, exec, s[0:1]
	s_cbranch_execz .LBB39_55
; %bb.54:
	v_mov_b32_e32 v1, s13
	v_add_co_u32_e32 v0, vcc, s12, v8
	v_addc_co_u32_e32 v1, vcc, v1, v9, vcc
	v_mov_b32_e32 v2, 1
	s_waitcnt vmcnt(0)
	global_store_dword v[0:1], v2, off
.LBB39_55:
	s_endpgm
	.section	.rodata,"a",@progbits
	.p2align	6, 0x0
	.amdhsa_kernel _ZN9rocsparseL23csric0_binsearch_kernelILj256ELj64ELb1E21rocsparse_complex_numIdEEEviPKiS4_PT2_S4_PiS4_S7_S7_d21rocsparse_index_base_
		.amdhsa_group_segment_fixed_size 0
		.amdhsa_private_segment_fixed_size 0
		.amdhsa_kernarg_size 84
		.amdhsa_user_sgpr_count 6
		.amdhsa_user_sgpr_private_segment_buffer 1
		.amdhsa_user_sgpr_dispatch_ptr 0
		.amdhsa_user_sgpr_queue_ptr 0
		.amdhsa_user_sgpr_kernarg_segment_ptr 1
		.amdhsa_user_sgpr_dispatch_id 0
		.amdhsa_user_sgpr_flat_scratch_init 0
		.amdhsa_user_sgpr_kernarg_preload_length 0
		.amdhsa_user_sgpr_kernarg_preload_offset 0
		.amdhsa_user_sgpr_private_segment_size 0
		.amdhsa_uses_dynamic_stack 0
		.amdhsa_system_sgpr_private_segment_wavefront_offset 0
		.amdhsa_system_sgpr_workgroup_id_x 1
		.amdhsa_system_sgpr_workgroup_id_y 0
		.amdhsa_system_sgpr_workgroup_id_z 0
		.amdhsa_system_sgpr_workgroup_info 0
		.amdhsa_system_vgpr_workitem_id 0
		.amdhsa_next_free_vgpr 52
		.amdhsa_next_free_sgpr 38
		.amdhsa_accum_offset 52
		.amdhsa_reserve_vcc 1
		.amdhsa_reserve_flat_scratch 0
		.amdhsa_float_round_mode_32 0
		.amdhsa_float_round_mode_16_64 0
		.amdhsa_float_denorm_mode_32 3
		.amdhsa_float_denorm_mode_16_64 3
		.amdhsa_dx10_clamp 1
		.amdhsa_ieee_mode 1
		.amdhsa_fp16_overflow 0
		.amdhsa_tg_split 0
		.amdhsa_exception_fp_ieee_invalid_op 0
		.amdhsa_exception_fp_denorm_src 0
		.amdhsa_exception_fp_ieee_div_zero 0
		.amdhsa_exception_fp_ieee_overflow 0
		.amdhsa_exception_fp_ieee_underflow 0
		.amdhsa_exception_fp_ieee_inexact 0
		.amdhsa_exception_int_div_zero 0
	.end_amdhsa_kernel
	.section	.text._ZN9rocsparseL23csric0_binsearch_kernelILj256ELj64ELb1E21rocsparse_complex_numIdEEEviPKiS4_PT2_S4_PiS4_S7_S7_d21rocsparse_index_base_,"axG",@progbits,_ZN9rocsparseL23csric0_binsearch_kernelILj256ELj64ELb1E21rocsparse_complex_numIdEEEviPKiS4_PT2_S4_PiS4_S7_S7_d21rocsparse_index_base_,comdat
.Lfunc_end39:
	.size	_ZN9rocsparseL23csric0_binsearch_kernelILj256ELj64ELb1E21rocsparse_complex_numIdEEEviPKiS4_PT2_S4_PiS4_S7_S7_d21rocsparse_index_base_, .Lfunc_end39-_ZN9rocsparseL23csric0_binsearch_kernelILj256ELj64ELb1E21rocsparse_complex_numIdEEEviPKiS4_PT2_S4_PiS4_S7_S7_d21rocsparse_index_base_
                                        ; -- End function
	.section	.AMDGPU.csdata,"",@progbits
; Kernel info:
; codeLenInByte = 2824
; NumSgprs: 42
; NumVgprs: 52
; NumAgprs: 0
; TotalNumVgprs: 52
; ScratchSize: 0
; MemoryBound: 1
; FloatMode: 240
; IeeeMode: 1
; LDSByteSize: 0 bytes/workgroup (compile time only)
; SGPRBlocks: 5
; VGPRBlocks: 6
; NumSGPRsForWavesPerEU: 42
; NumVGPRsForWavesPerEU: 52
; AccumOffset: 52
; Occupancy: 8
; WaveLimiterHint : 1
; COMPUTE_PGM_RSRC2:SCRATCH_EN: 0
; COMPUTE_PGM_RSRC2:USER_SGPR: 6
; COMPUTE_PGM_RSRC2:TRAP_HANDLER: 0
; COMPUTE_PGM_RSRC2:TGID_X_EN: 1
; COMPUTE_PGM_RSRC2:TGID_Y_EN: 0
; COMPUTE_PGM_RSRC2:TGID_Z_EN: 0
; COMPUTE_PGM_RSRC2:TIDIG_COMP_CNT: 0
; COMPUTE_PGM_RSRC3_GFX90A:ACCUM_OFFSET: 12
; COMPUTE_PGM_RSRC3_GFX90A:TG_SPLIT: 0
	.section	.text._ZN9rocsparseL18csric0_hash_kernelILj256ELj32ELj1E21rocsparse_complex_numIdEEEviPKiS4_PT2_S4_PiS4_S7_S7_d21rocsparse_index_base_,"axG",@progbits,_ZN9rocsparseL18csric0_hash_kernelILj256ELj32ELj1E21rocsparse_complex_numIdEEEviPKiS4_PT2_S4_PiS4_S7_S7_d21rocsparse_index_base_,comdat
	.globl	_ZN9rocsparseL18csric0_hash_kernelILj256ELj32ELj1E21rocsparse_complex_numIdEEEviPKiS4_PT2_S4_PiS4_S7_S7_d21rocsparse_index_base_ ; -- Begin function _ZN9rocsparseL18csric0_hash_kernelILj256ELj32ELj1E21rocsparse_complex_numIdEEEviPKiS4_PT2_S4_PiS4_S7_S7_d21rocsparse_index_base_
	.p2align	8
	.type	_ZN9rocsparseL18csric0_hash_kernelILj256ELj32ELj1E21rocsparse_complex_numIdEEEviPKiS4_PT2_S4_PiS4_S7_S7_d21rocsparse_index_base_,@function
_ZN9rocsparseL18csric0_hash_kernelILj256ELj32ELj1E21rocsparse_complex_numIdEEEviPKiS4_PT2_S4_PiS4_S7_S7_d21rocsparse_index_base_: ; @_ZN9rocsparseL18csric0_hash_kernelILj256ELj32ELj1E21rocsparse_complex_numIdEEEviPKiS4_PT2_S4_PiS4_S7_S7_d21rocsparse_index_base_
; %bb.0:
	s_load_dword s0, s[4:5], 0x0
	s_lshl_b32 s1, s6, 3
	v_and_b32_e32 v13, 31, v0
	v_and_b32_e32 v1, 0xe0, v0
	v_mov_b32_e32 v2, 0x400
	v_lshrrev_b32_e32 v0, 5, v0
	s_and_b32 s1, s1, 0x7fffff8
	v_lshl_or_b32 v30, v1, 2, v2
	v_or_b32_e32 v0, s1, v0
	v_lshl_or_b32 v2, v13, 2, v30
	v_mov_b32_e32 v3, -1
	s_waitcnt lgkmcnt(0)
	v_cmp_gt_i32_e32 vcc, s0, v0
	ds_write_b32 v2, v3
	s_waitcnt lgkmcnt(0)
	s_and_saveexec_b64 s[0:1], vcc
	s_cbranch_execz .LBB40_52
; %bb.1:
	s_load_dwordx8 s[8:15], s[4:5], 0x28
	v_lshlrev_b32_e32 v0, 2, v0
	s_load_dwordx8 s[16:23], s[4:5], 0x8
	s_load_dword s33, s[4:5], 0x50
	s_waitcnt lgkmcnt(0)
	global_load_dword v10, v0, s[10:11]
	v_mov_b32_e32 v3, s17
	v_mov_b32_e32 v0, s23
	s_waitcnt vmcnt(0)
	v_ashrrev_i32_e32 v11, 31, v10
	v_lshlrev_b64 v[8:9], 2, v[10:11]
	v_add_co_u32_e32 v2, vcc, s16, v8
	v_addc_co_u32_e32 v3, vcc, v3, v9, vcc
	global_load_dwordx2 v[2:3], v[2:3], off
	v_add_co_u32_e32 v4, vcc, s22, v8
	v_addc_co_u32_e32 v5, vcc, v0, v9, vcc
	global_load_dword v12, v[4:5], off
	v_lshlrev_b32_e32 v11, 2, v1
	s_waitcnt vmcnt(1)
	v_subrev_u32_e32 v14, s33, v2
	v_subrev_u32_e32 v2, s33, v3
	v_add_u32_e32 v0, v14, v13
	v_cmp_lt_i32_e32 vcc, v0, v2
	s_and_saveexec_b64 s[0:1], vcc
	s_cbranch_execz .LBB40_11
; %bb.2:
	s_mov_b64 s[2:3], 0
	v_mov_b32_e32 v3, s19
	v_mov_b32_e32 v4, -1
	s_branch .LBB40_4
.LBB40_3:                               ;   in Loop: Header=BB40_4 Depth=1
	s_or_b64 exec, exec, s[6:7]
	v_add_u32_e32 v0, 32, v0
	v_cmp_ge_i32_e32 vcc, v0, v2
	s_or_b64 s[2:3], vcc, s[2:3]
	s_andn2_b64 exec, exec, s[2:3]
	s_cbranch_execz .LBB40_11
.LBB40_4:                               ; =>This Loop Header: Depth=1
                                        ;     Child Loop BB40_7 Depth 2
	v_ashrrev_i32_e32 v1, 31, v0
	v_lshlrev_b64 v[6:7], 2, v[0:1]
	v_add_co_u32_e32 v6, vcc, s18, v6
	v_addc_co_u32_e32 v7, vcc, v3, v7, vcc
	global_load_dword v1, v[6:7], off
	s_waitcnt vmcnt(0)
	v_mul_lo_u32 v5, v1, 7
	v_and_b32_e32 v5, 31, v5
	v_lshl_add_u32 v6, v5, 2, v30
	ds_read_b32 v7, v6
	s_waitcnt lgkmcnt(0)
	v_cmp_ne_u32_e32 vcc, v7, v1
	s_and_saveexec_b64 s[6:7], vcc
	s_cbranch_execz .LBB40_3
; %bb.5:                                ;   in Loop: Header=BB40_4 Depth=1
	s_mov_b64 s[10:11], 0
                                        ; implicit-def: $sgpr24_sgpr25
                                        ; implicit-def: $sgpr28_sgpr29
                                        ; implicit-def: $sgpr26_sgpr27
	s_branch .LBB40_7
.LBB40_6:                               ;   in Loop: Header=BB40_7 Depth=2
	s_or_b64 exec, exec, s[30:31]
	s_and_b64 s[30:31], exec, s[28:29]
	s_or_b64 s[10:11], s[30:31], s[10:11]
	s_andn2_b64 s[24:25], s[24:25], exec
	s_and_b64 s[30:31], s[26:27], exec
	s_or_b64 s[24:25], s[24:25], s[30:31]
	s_andn2_b64 exec, exec, s[10:11]
	s_cbranch_execz .LBB40_9
.LBB40_7:                               ;   Parent Loop BB40_4 Depth=1
                                        ; =>  This Inner Loop Header: Depth=2
	ds_cmpst_rtn_b32 v6, v6, v4, v1
	v_mov_b32_e32 v7, v5
	s_or_b64 s[26:27], s[26:27], exec
	s_or_b64 s[28:29], s[28:29], exec
                                        ; implicit-def: $vgpr5
	s_waitcnt lgkmcnt(0)
	v_cmp_ne_u32_e32 vcc, -1, v6
                                        ; implicit-def: $vgpr6
	s_and_saveexec_b64 s[30:31], vcc
	s_cbranch_execz .LBB40_6
; %bb.8:                                ;   in Loop: Header=BB40_7 Depth=2
	v_add_u32_e32 v5, 1, v7
	v_and_b32_e32 v5, 31, v5
	v_lshl_add_u32 v6, v5, 2, v30
	ds_read_b32 v15, v6
	s_andn2_b64 s[28:29], s[28:29], exec
	s_andn2_b64 s[26:27], s[26:27], exec
	s_waitcnt lgkmcnt(0)
	v_cmp_eq_u32_e32 vcc, v15, v1
	s_and_b64 s[34:35], vcc, exec
	s_or_b64 s[28:29], s[28:29], s[34:35]
	s_branch .LBB40_6
.LBB40_9:                               ;   in Loop: Header=BB40_4 Depth=1
	s_or_b64 exec, exec, s[10:11]
	s_and_saveexec_b64 s[10:11], s[24:25]
	s_xor_b64 s[10:11], exec, s[10:11]
	s_cbranch_execz .LBB40_3
; %bb.10:                               ;   in Loop: Header=BB40_4 Depth=1
	v_lshl_add_u32 v1, v7, 2, v11
	ds_write_b32 v1, v0
	s_branch .LBB40_3
.LBB40_11:
	s_or_b64 exec, exec, s[0:1]
	v_pk_mov_b32 v[16:17], 0, 0
	s_waitcnt vmcnt(0)
	v_cmp_lt_i32_e32 vcc, v14, v12
	s_mov_b64 s[10:11], 0
	v_pk_mov_b32 v[18:19], v[16:17], v[16:17] op_sel:[0,1]
	s_waitcnt lgkmcnt(0)
	s_and_saveexec_b64 s[6:7], vcc
	s_cbranch_execz .LBB40_33
; %bb.12:
	v_pk_mov_b32 v[16:17], 0, 0
	v_add_u32_e32 v31, -1, v12
	v_subrev_u32_e32 v32, s33, v13
	v_cmp_eq_u32_e64 s[0:1], 31, v13
	v_mov_b32_e32 v33, s19
	v_mov_b32_e32 v34, s21
	;; [unrolled: 1-line block ×5, first 2 shown]
	v_pk_mov_b32 v[18:19], v[16:17], v[16:17] op_sel:[0,1]
	s_branch .LBB40_15
.LBB40_13:                              ;   in Loop: Header=BB40_15 Depth=1
	s_or_b64 exec, exec, s[24:25]
	v_add_u32_e32 v14, 1, v14
	v_cmp_ge_i32_e32 vcc, v14, v12
	s_orn2_b64 s[24:25], vcc, exec
.LBB40_14:                              ;   in Loop: Header=BB40_15 Depth=1
	s_or_b64 exec, exec, s[2:3]
	s_and_b64 s[2:3], exec, s[24:25]
	s_or_b64 s[10:11], s[2:3], s[10:11]
	s_andn2_b64 exec, exec, s[10:11]
	s_cbranch_execz .LBB40_32
.LBB40_15:                              ; =>This Loop Header: Depth=1
                                        ;     Child Loop BB40_16 Depth 2
                                        ;     Child Loop BB40_22 Depth 2
                                        ;       Child Loop BB40_25 Depth 3
	v_ashrrev_i32_e32 v15, 31, v14
	v_lshlrev_b64 v[0:1], 2, v[14:15]
	v_add_co_u32_e32 v0, vcc, s18, v0
	v_addc_co_u32_e32 v1, vcc, v33, v1, vcc
	global_load_dword v4, v[0:1], off
	v_lshlrev_b64 v[0:1], 4, v[14:15]
	v_add_co_u32_e32 v20, vcc, s20, v0
	v_addc_co_u32_e32 v21, vcc, v34, v1, vcc
	global_load_dwordx4 v[0:3], v[20:21], off
	s_mov_b64 s[2:3], 0
	s_waitcnt vmcnt(1)
	v_subrev_u32_e32 v4, s33, v4
	v_ashrrev_i32_e32 v5, 31, v4
	v_lshlrev_b64 v[4:5], 2, v[4:5]
	v_add_co_u32_e32 v22, vcc, s16, v4
	v_addc_co_u32_e32 v23, vcc, v35, v5, vcc
	v_add_co_u32_e32 v24, vcc, s22, v4
	v_addc_co_u32_e32 v25, vcc, v36, v5, vcc
	global_load_dword v15, v[22:23], off
	global_load_dword v6, v[24:25], off
	v_add_co_u32_e32 v4, vcc, s8, v4
	v_addc_co_u32_e32 v5, vcc, v37, v5, vcc
.LBB40_16:                              ;   Parent Loop BB40_15 Depth=1
                                        ; =>  This Inner Loop Header: Depth=2
	global_load_dword v7, v[4:5], off glc
	s_waitcnt vmcnt(0)
	v_cmp_ne_u32_e32 vcc, 0, v7
	s_or_b64 s[2:3], vcc, s[2:3]
	s_andn2_b64 exec, exec, s[2:3]
	s_cbranch_execnz .LBB40_16
; %bb.17:                               ;   in Loop: Header=BB40_15 Depth=1
	s_or_b64 exec, exec, s[2:3]
	v_cmp_eq_u32_e32 vcc, -1, v6
	v_cndmask_b32_e32 v22, v6, v31, vcc
	v_ashrrev_i32_e32 v23, 31, v22
	v_lshlrev_b64 v[4:5], 4, v[22:23]
	v_add_co_u32_e32 v4, vcc, s20, v4
	v_addc_co_u32_e32 v5, vcc, v34, v5, vcc
	buffer_wbinvl1_vol
	global_load_dwordx4 v[4:7], v[4:5], off
	s_mov_b64 s[24:25], -1
	s_waitcnt vmcnt(0)
	v_cmp_neq_f64_e32 vcc, 0, v[4:5]
	v_cmp_neq_f64_e64 s[2:3], 0, v[6:7]
	s_or_b64 s[26:27], vcc, s[2:3]
	s_and_saveexec_b64 s[2:3], s[26:27]
	s_cbranch_execz .LBB40_14
; %bb.18:                               ;   in Loop: Header=BB40_15 Depth=1
	v_add_u32_e32 v28, v32, v15
	v_pk_mov_b32 v[24:25], 0, 0
	v_cmp_lt_i32_e32 vcc, v28, v22
	v_pk_mov_b32 v[26:27], v[24:25], v[24:25] op_sel:[0,1]
	s_and_saveexec_b64 s[24:25], vcc
	s_cbranch_execz .LBB40_30
; %bb.19:                               ;   in Loop: Header=BB40_15 Depth=1
	v_pk_mov_b32 v[24:25], 0, 0
	s_mov_b64 s[26:27], 0
	v_pk_mov_b32 v[26:27], v[24:25], v[24:25] op_sel:[0,1]
	s_branch .LBB40_22
.LBB40_20:                              ;   in Loop: Header=BB40_22 Depth=2
	s_or_b64 exec, exec, s[30:31]
.LBB40_21:                              ;   in Loop: Header=BB40_22 Depth=2
	s_or_b64 exec, exec, s[28:29]
	v_add_u32_e32 v28, 32, v28
	v_cmp_ge_i32_e32 vcc, v28, v22
	s_or_b64 s[26:27], vcc, s[26:27]
	s_andn2_b64 exec, exec, s[26:27]
	s_cbranch_execz .LBB40_29
.LBB40_22:                              ;   Parent Loop BB40_15 Depth=1
                                        ; =>  This Loop Header: Depth=2
                                        ;       Child Loop BB40_25 Depth 3
	v_ashrrev_i32_e32 v29, 31, v28
	v_lshlrev_b64 v[38:39], 2, v[28:29]
	v_mov_b32_e32 v15, s19
	v_add_co_u32_e32 v38, vcc, s18, v38
	v_addc_co_u32_e32 v39, vcc, v15, v39, vcc
	global_load_dword v15, v[38:39], off
	s_waitcnt vmcnt(0)
	v_mul_lo_u32 v23, v15, 7
	v_and_b32_e32 v39, 31, v23
	v_lshl_add_u32 v23, v39, 2, v30
	ds_read_b32 v38, v23
	s_waitcnt lgkmcnt(0)
	v_cmp_ne_u32_e32 vcc, -1, v38
	s_and_saveexec_b64 s[28:29], vcc
	s_cbranch_execz .LBB40_21
; %bb.23:                               ;   in Loop: Header=BB40_22 Depth=2
	s_mov_b64 s[34:35], 0
                                        ; implicit-def: $sgpr30_sgpr31
                                        ; implicit-def: $sgpr38_sgpr39
                                        ; implicit-def: $sgpr36_sgpr37
	s_branch .LBB40_25
.LBB40_24:                              ;   in Loop: Header=BB40_25 Depth=3
	s_or_b64 exec, exec, s[40:41]
	s_and_b64 s[40:41], exec, s[38:39]
	s_or_b64 s[34:35], s[40:41], s[34:35]
	s_andn2_b64 s[30:31], s[30:31], exec
	s_and_b64 s[40:41], s[36:37], exec
	s_or_b64 s[30:31], s[30:31], s[40:41]
	s_andn2_b64 exec, exec, s[34:35]
	s_cbranch_execz .LBB40_27
.LBB40_25:                              ;   Parent Loop BB40_15 Depth=1
                                        ;     Parent Loop BB40_22 Depth=2
                                        ; =>    This Inner Loop Header: Depth=3
	v_mov_b32_e32 v23, v39
	v_cmp_ne_u32_e32 vcc, v38, v15
	s_or_b64 s[36:37], s[36:37], exec
	s_or_b64 s[38:39], s[38:39], exec
                                        ; implicit-def: $vgpr39
                                        ; implicit-def: $vgpr38
	s_and_saveexec_b64 s[40:41], vcc
	s_cbranch_execz .LBB40_24
; %bb.26:                               ;   in Loop: Header=BB40_25 Depth=3
	v_add_u32_e32 v38, 1, v23
	v_and_b32_e32 v39, 31, v38
	v_lshl_add_u32 v38, v39, 2, v30
	ds_read_b32 v38, v38
	s_andn2_b64 s[38:39], s[38:39], exec
	s_andn2_b64 s[36:37], s[36:37], exec
	s_waitcnt lgkmcnt(0)
	v_cmp_eq_u32_e32 vcc, -1, v38
	s_and_b64 s[42:43], vcc, exec
	s_or_b64 s[38:39], s[38:39], s[42:43]
	s_branch .LBB40_24
.LBB40_27:                              ;   in Loop: Header=BB40_22 Depth=2
	s_or_b64 exec, exec, s[34:35]
	s_and_saveexec_b64 s[34:35], s[30:31]
	s_xor_b64 s[30:31], exec, s[34:35]
	s_cbranch_execz .LBB40_20
; %bb.28:                               ;   in Loop: Header=BB40_22 Depth=2
	v_lshl_add_u32 v15, v23, 2, v11
	ds_read_b32 v38, v15
	v_lshlrev_b64 v[40:41], 4, v[28:29]
	v_mov_b32_e32 v15, s21
	v_add_co_u32_e32 v46, vcc, s20, v40
	s_waitcnt lgkmcnt(0)
	v_ashrrev_i32_e32 v39, 31, v38
	v_addc_co_u32_e32 v47, vcc, v15, v41, vcc
	v_lshlrev_b64 v[38:39], 4, v[38:39]
	v_add_co_u32_e32 v48, vcc, s20, v38
	v_addc_co_u32_e32 v49, vcc, v15, v39, vcc
	global_load_dwordx4 v[38:41], v[46:47], off
	global_load_dwordx4 v[42:45], v[48:49], off
	s_waitcnt vmcnt(0)
	v_fmac_f64_e32 v[26:27], v[38:39], v[42:43]
	v_fmac_f64_e32 v[24:25], v[40:41], v[42:43]
	;; [unrolled: 1-line block ×3, first 2 shown]
	v_fma_f64 v[24:25], v[38:39], -v[44:45], v[24:25]
	s_branch .LBB40_20
.LBB40_29:                              ;   in Loop: Header=BB40_15 Depth=1
	s_or_b64 exec, exec, s[26:27]
.LBB40_30:                              ;   in Loop: Header=BB40_15 Depth=1
	s_or_b64 exec, exec, s[24:25]
	v_mov_b32_dpp v22, v26 row_shr:1 row_mask:0xf bank_mask:0xf
	v_mov_b32_dpp v23, v27 row_shr:1 row_mask:0xf bank_mask:0xf
	v_mov_b32_dpp v28, v24 row_shr:1 row_mask:0xf bank_mask:0xf
	v_mov_b32_dpp v29, v25 row_shr:1 row_mask:0xf bank_mask:0xf
	v_add_f64 v[22:23], v[26:27], v[22:23]
	v_add_f64 v[24:25], v[24:25], v[28:29]
	s_nop 0
	v_mov_b32_dpp v26, v22 row_shr:2 row_mask:0xf bank_mask:0xf
	v_mov_b32_dpp v27, v23 row_shr:2 row_mask:0xf bank_mask:0xf
	v_mov_b32_dpp v28, v24 row_shr:2 row_mask:0xf bank_mask:0xf
	v_mov_b32_dpp v29, v25 row_shr:2 row_mask:0xf bank_mask:0xf
	v_add_f64 v[22:23], v[22:23], v[26:27]
	v_add_f64 v[24:25], v[24:25], v[28:29]
	s_nop 0
	;; [unrolled: 7-line block ×4, first 2 shown]
	v_mov_b32_dpp v26, v22 row_bcast:15 row_mask:0xa bank_mask:0xf
	v_mov_b32_dpp v27, v23 row_bcast:15 row_mask:0xa bank_mask:0xf
	;; [unrolled: 1-line block ×4, first 2 shown]
	s_and_saveexec_b64 s[24:25], s[0:1]
	s_cbranch_execz .LBB40_13
; %bb.31:                               ;   in Loop: Header=BB40_15 Depth=1
	v_mul_f64 v[38:39], v[6:7], v[6:7]
	v_fmac_f64_e32 v[38:39], v[4:5], v[4:5]
	v_div_scale_f64 v[40:41], s[26:27], v[38:39], v[38:39], 1.0
	v_rcp_f64_e32 v[42:43], v[40:41]
	v_div_scale_f64 v[44:45], vcc, 1.0, v[38:39], 1.0
	v_add_f64 v[22:23], v[22:23], v[26:27]
	v_fma_f64 v[46:47], -v[40:41], v[42:43], 1.0
	v_fmac_f64_e32 v[42:43], v[42:43], v[46:47]
	v_fma_f64 v[46:47], -v[40:41], v[42:43], 1.0
	v_fmac_f64_e32 v[42:43], v[42:43], v[46:47]
	v_mul_f64 v[46:47], v[44:45], v[42:43]
	v_fma_f64 v[40:41], -v[40:41], v[46:47], v[44:45]
	v_div_fmas_f64 v[40:41], v[40:41], v[42:43], v[46:47]
	v_div_fixup_f64 v[38:39], v[40:41], v[38:39], 1.0
	v_fma_f64 v[40:41], 0, v[6:7], v[4:5]
	v_fma_f64 v[4:5], v[4:5], 0, -v[6:7]
	v_add_f64 v[6:7], v[24:25], v[28:29]
	v_mul_f64 v[4:5], v[4:5], v[38:39]
	v_add_f64 v[22:23], v[0:1], -v[22:23]
	v_add_f64 v[6:7], v[2:3], -v[6:7]
	v_mul_f64 v[40:41], v[40:41], v[38:39]
	v_mul_f64 v[0:1], v[4:5], -v[6:7]
	v_mul_f64 v[2:3], v[4:5], v[22:23]
	v_fmac_f64_e32 v[0:1], v[22:23], v[40:41]
	v_fmac_f64_e32 v[2:3], v[6:7], v[40:41]
	v_fmac_f64_e32 v[18:19], v[0:1], v[0:1]
	v_fmac_f64_e32 v[16:17], v[2:3], v[0:1]
	v_fmac_f64_e32 v[18:19], v[2:3], v[2:3]
	v_fma_f64 v[16:17], v[0:1], -v[2:3], v[16:17]
	global_store_dwordx4 v[20:21], v[0:3], off
	s_branch .LBB40_13
.LBB40_32:
	s_or_b64 exec, exec, s[10:11]
.LBB40_33:
	s_or_b64 exec, exec, s[6:7]
	v_cmp_eq_u32_e64 s[0:1], 31, v13
	v_cmp_lt_i32_e32 vcc, -1, v12
	s_and_b64 s[2:3], s[0:1], vcc
	s_and_saveexec_b64 s[6:7], s[2:3]
	s_cbranch_execz .LBB40_50
; %bb.34:
	v_mov_b32_e32 v13, 0
	v_lshlrev_b64 v[0:1], 4, v[12:13]
	v_mov_b32_e32 v2, s21
	v_add_co_u32_e32 v0, vcc, s20, v0
	v_addc_co_u32_e32 v1, vcc, v2, v1, vcc
	global_load_dwordx4 v[2:5], v[0:1], off
	s_load_dwordx2 s[2:3], s[4:5], 0x48
	s_waitcnt lgkmcnt(0)
	v_mul_f64 v[12:13], s[2:3], s[2:3]
	s_waitcnt vmcnt(0)
	v_add_f64 v[2:3], v[2:3], -v[18:19]
	v_add_f64 v[6:7], v[4:5], -v[16:17]
	v_cmp_le_f64_e32 vcc, v[2:3], v[12:13]
	v_cmp_eq_f64_e64 s[2:3], 0, v[6:7]
	s_and_b64 s[4:5], vcc, s[2:3]
	v_add_u32_e32 v12, s33, v10
	s_and_saveexec_b64 s[2:3], s[4:5]
	s_cbranch_execz .LBB40_39
; %bb.35:
	s_mov_b64 s[4:5], exec
	s_brev_b32 s10, -2
.LBB40_36:                              ; =>This Inner Loop Header: Depth=1
	s_ff1_i32_b64 s11, s[4:5]
	v_readlane_b32 s18, v12, s11
	s_lshl_b64 s[16:17], 1, s11
	s_min_i32 s10, s10, s18
	s_andn2_b64 s[4:5], s[4:5], s[16:17]
	s_cmp_lg_u64 s[4:5], 0
	s_cbranch_scc1 .LBB40_36
; %bb.37:
	v_mbcnt_lo_u32_b32 v4, exec_lo, 0
	v_mbcnt_hi_u32_b32 v4, exec_hi, v4
	v_cmp_eq_u32_e32 vcc, 0, v4
	s_and_saveexec_b64 s[4:5], vcc
	s_xor_b64 s[4:5], exec, s[4:5]
	s_cbranch_execz .LBB40_39
; %bb.38:
	v_mov_b32_e32 v4, 0
	v_mov_b32_e32 v5, s10
	global_atomic_smin v4, v5, s[14:15]
.LBB40_39:
	s_or_b64 exec, exec, s[2:3]
	v_xor_b32_e32 v4, 0x80000000, v3
	v_cmp_gt_f64_e32 vcc, 0, v[2:3]
	v_cndmask_b32_e32 v3, v3, v4, vcc
	v_cndmask_b32_e32 v2, v2, v2, vcc
	v_xor_b32_e32 v4, 0x80000000, v7
	v_cmp_gt_f64_e32 vcc, 0, v[6:7]
	v_cndmask_b32_e32 v5, v7, v4, vcc
	v_cndmask_b32_e32 v4, v6, v6, vcc
	v_cmp_ngt_f64_e32 vcc, v[2:3], v[4:5]
                                        ; implicit-def: $vgpr10_vgpr11
	s_and_saveexec_b64 s[2:3], vcc
	s_xor_b64 s[2:3], exec, s[2:3]
	s_cbranch_execz .LBB40_43
; %bb.40:
	v_cmp_neq_f64_e32 vcc, 0, v[6:7]
	v_pk_mov_b32 v[10:11], 0, 0
	s_and_saveexec_b64 s[4:5], vcc
	s_cbranch_execz .LBB40_42
; %bb.41:
	v_div_scale_f64 v[6:7], s[10:11], v[4:5], v[4:5], v[2:3]
	v_rcp_f64_e32 v[10:11], v[6:7]
	v_div_scale_f64 v[14:15], vcc, v[2:3], v[4:5], v[2:3]
	s_mov_b32 s10, 0
	v_fma_f64 v[16:17], -v[6:7], v[10:11], 1.0
	v_fmac_f64_e32 v[10:11], v[10:11], v[16:17]
	v_fma_f64 v[16:17], -v[6:7], v[10:11], 1.0
	v_fmac_f64_e32 v[10:11], v[10:11], v[16:17]
	v_mul_f64 v[16:17], v[14:15], v[10:11]
	v_fma_f64 v[6:7], -v[6:7], v[16:17], v[14:15]
	v_div_fmas_f64 v[6:7], v[6:7], v[10:11], v[16:17]
	v_div_fixup_f64 v[2:3], v[6:7], v[4:5], v[2:3]
	v_fma_f64 v[2:3], v[2:3], v[2:3], 1.0
	s_brev_b32 s11, 8
	v_cmp_gt_f64_e32 vcc, s[10:11], v[2:3]
	v_cndmask_b32_e64 v6, 0, 1, vcc
	v_lshlrev_b32_e32 v6, 8, v6
	v_ldexp_f64 v[2:3], v[2:3], v6
	v_rsq_f64_e32 v[6:7], v[2:3]
	v_mul_f64 v[10:11], v[2:3], v[6:7]
	v_mul_f64 v[6:7], v[6:7], 0.5
	v_fma_f64 v[14:15], -v[6:7], v[10:11], 0.5
	v_fmac_f64_e32 v[10:11], v[10:11], v[14:15]
	v_fma_f64 v[16:17], -v[10:11], v[10:11], v[2:3]
	v_fmac_f64_e32 v[6:7], v[6:7], v[14:15]
	v_fmac_f64_e32 v[10:11], v[16:17], v[6:7]
	v_fma_f64 v[14:15], -v[10:11], v[10:11], v[2:3]
	v_fmac_f64_e32 v[10:11], v[14:15], v[6:7]
	v_mov_b32_e32 v6, 0xffffff80
	v_cndmask_b32_e32 v6, 0, v6, vcc
	v_ldexp_f64 v[6:7], v[10:11], v6
	v_mov_b32_e32 v10, 0x260
	v_cmp_class_f64_e32 vcc, v[2:3], v10
	v_cndmask_b32_e32 v3, v7, v3, vcc
	v_cndmask_b32_e32 v2, v6, v2, vcc
	v_mul_f64 v[10:11], v[4:5], v[2:3]
.LBB40_42:
	s_or_b64 exec, exec, s[4:5]
                                        ; implicit-def: $vgpr2_vgpr3
                                        ; implicit-def: $vgpr4_vgpr5
.LBB40_43:
	s_andn2_saveexec_b64 s[2:3], s[2:3]
	s_cbranch_execz .LBB40_45
; %bb.44:
	v_div_scale_f64 v[6:7], s[4:5], v[2:3], v[2:3], v[4:5]
	v_rcp_f64_e32 v[10:11], v[6:7]
	v_div_scale_f64 v[14:15], vcc, v[4:5], v[2:3], v[4:5]
	s_mov_b32 s4, 0
	v_fma_f64 v[16:17], -v[6:7], v[10:11], 1.0
	v_fmac_f64_e32 v[10:11], v[10:11], v[16:17]
	v_fma_f64 v[16:17], -v[6:7], v[10:11], 1.0
	v_fmac_f64_e32 v[10:11], v[10:11], v[16:17]
	v_mul_f64 v[16:17], v[14:15], v[10:11]
	v_fma_f64 v[6:7], -v[6:7], v[16:17], v[14:15]
	v_div_fmas_f64 v[6:7], v[6:7], v[10:11], v[16:17]
	v_div_fixup_f64 v[4:5], v[6:7], v[2:3], v[4:5]
	v_fma_f64 v[4:5], v[4:5], v[4:5], 1.0
	s_brev_b32 s5, 8
	v_cmp_gt_f64_e32 vcc, s[4:5], v[4:5]
	v_cndmask_b32_e64 v6, 0, 1, vcc
	v_lshlrev_b32_e32 v6, 8, v6
	v_ldexp_f64 v[4:5], v[4:5], v6
	v_rsq_f64_e32 v[6:7], v[4:5]
	v_mul_f64 v[10:11], v[4:5], v[6:7]
	v_mul_f64 v[6:7], v[6:7], 0.5
	v_fma_f64 v[14:15], -v[6:7], v[10:11], 0.5
	v_fmac_f64_e32 v[10:11], v[10:11], v[14:15]
	v_fma_f64 v[16:17], -v[10:11], v[10:11], v[4:5]
	v_fmac_f64_e32 v[6:7], v[6:7], v[14:15]
	v_fmac_f64_e32 v[10:11], v[16:17], v[6:7]
	v_fma_f64 v[14:15], -v[10:11], v[10:11], v[4:5]
	v_fmac_f64_e32 v[10:11], v[14:15], v[6:7]
	v_mov_b32_e32 v6, 0xffffff80
	v_cndmask_b32_e32 v6, 0, v6, vcc
	v_ldexp_f64 v[6:7], v[10:11], v6
	v_mov_b32_e32 v10, 0x260
	v_cmp_class_f64_e32 vcc, v[4:5], v10
	v_cndmask_b32_e32 v5, v7, v5, vcc
	v_cndmask_b32_e32 v4, v6, v4, vcc
	v_mul_f64 v[10:11], v[2:3], v[4:5]
.LBB40_45:
	s_or_b64 exec, exec, s[2:3]
	s_mov_b32 s2, 0
	s_brev_b32 s3, 8
	v_cmp_gt_f64_e32 vcc, s[2:3], v[10:11]
	v_cndmask_b32_e64 v2, 0, 1, vcc
	v_lshlrev_b32_e32 v2, 8, v2
	v_ldexp_f64 v[2:3], v[10:11], v2
	v_rsq_f64_e32 v[4:5], v[2:3]
	v_mul_f64 v[6:7], v[2:3], v[4:5]
	v_mul_f64 v[4:5], v[4:5], 0.5
	v_fma_f64 v[10:11], -v[4:5], v[6:7], 0.5
	v_fmac_f64_e32 v[6:7], v[6:7], v[10:11]
	v_fma_f64 v[14:15], -v[6:7], v[6:7], v[2:3]
	v_fmac_f64_e32 v[4:5], v[4:5], v[10:11]
	v_fmac_f64_e32 v[6:7], v[14:15], v[4:5]
	v_fma_f64 v[10:11], -v[6:7], v[6:7], v[2:3]
	v_fmac_f64_e32 v[6:7], v[10:11], v[4:5]
	v_mov_b32_e32 v5, 0xffffff80
	v_cndmask_b32_e32 v5, 0, v5, vcc
	v_ldexp_f64 v[6:7], v[6:7], v5
	v_mov_b32_e32 v5, 0x260
	v_cmp_class_f64_e32 vcc, v[2:3], v5
	v_mov_b32_e32 v4, 0
	v_cndmask_b32_e32 v3, v7, v3, vcc
	v_cndmask_b32_e32 v2, v6, v2, vcc
	v_mov_b32_e32 v5, v4
	v_cmp_eq_f64_e32 vcc, 0, v[2:3]
	global_store_dwordx4 v[0:1], v[2:5], off
	s_and_b64 exec, exec, vcc
	s_cbranch_execz .LBB40_50
; %bb.46:
	s_mov_b64 s[2:3], exec
	s_brev_b32 s4, -2
.LBB40_47:                              ; =>This Inner Loop Header: Depth=1
	s_ff1_i32_b64 s5, s[2:3]
	v_readlane_b32 s14, v12, s5
	s_lshl_b64 s[10:11], 1, s5
	s_min_i32 s4, s4, s14
	s_andn2_b64 s[2:3], s[2:3], s[10:11]
	s_cmp_lg_u64 s[2:3], 0
	s_cbranch_scc1 .LBB40_47
; %bb.48:
	v_mbcnt_lo_u32_b32 v0, exec_lo, 0
	v_mbcnt_hi_u32_b32 v0, exec_hi, v0
	v_cmp_eq_u32_e32 vcc, 0, v0
	s_and_saveexec_b64 s[2:3], vcc
	s_xor_b64 s[2:3], exec, s[2:3]
	s_cbranch_execz .LBB40_50
; %bb.49:
	v_mov_b32_e32 v0, 0
	v_mov_b32_e32 v1, s4
	global_atomic_smin v0, v1, s[12:13]
.LBB40_50:
	s_or_b64 exec, exec, s[6:7]
	s_and_b64 exec, exec, s[0:1]
	s_cbranch_execz .LBB40_52
; %bb.51:
	v_mov_b32_e32 v1, s9
	v_add_co_u32_e32 v0, vcc, s8, v8
	v_addc_co_u32_e32 v1, vcc, v1, v9, vcc
	v_mov_b32_e32 v2, 1
	s_waitcnt vmcnt(0)
	global_store_dword v[0:1], v2, off
.LBB40_52:
	s_endpgm
	.section	.rodata,"a",@progbits
	.p2align	6, 0x0
	.amdhsa_kernel _ZN9rocsparseL18csric0_hash_kernelILj256ELj32ELj1E21rocsparse_complex_numIdEEEviPKiS4_PT2_S4_PiS4_S7_S7_d21rocsparse_index_base_
		.amdhsa_group_segment_fixed_size 2048
		.amdhsa_private_segment_fixed_size 0
		.amdhsa_kernarg_size 84
		.amdhsa_user_sgpr_count 6
		.amdhsa_user_sgpr_private_segment_buffer 1
		.amdhsa_user_sgpr_dispatch_ptr 0
		.amdhsa_user_sgpr_queue_ptr 0
		.amdhsa_user_sgpr_kernarg_segment_ptr 1
		.amdhsa_user_sgpr_dispatch_id 0
		.amdhsa_user_sgpr_flat_scratch_init 0
		.amdhsa_user_sgpr_kernarg_preload_length 0
		.amdhsa_user_sgpr_kernarg_preload_offset 0
		.amdhsa_user_sgpr_private_segment_size 0
		.amdhsa_uses_dynamic_stack 0
		.amdhsa_system_sgpr_private_segment_wavefront_offset 0
		.amdhsa_system_sgpr_workgroup_id_x 1
		.amdhsa_system_sgpr_workgroup_id_y 0
		.amdhsa_system_sgpr_workgroup_id_z 0
		.amdhsa_system_sgpr_workgroup_info 0
		.amdhsa_system_vgpr_workitem_id 0
		.amdhsa_next_free_vgpr 50
		.amdhsa_next_free_sgpr 44
		.amdhsa_accum_offset 52
		.amdhsa_reserve_vcc 1
		.amdhsa_reserve_flat_scratch 0
		.amdhsa_float_round_mode_32 0
		.amdhsa_float_round_mode_16_64 0
		.amdhsa_float_denorm_mode_32 3
		.amdhsa_float_denorm_mode_16_64 3
		.amdhsa_dx10_clamp 1
		.amdhsa_ieee_mode 1
		.amdhsa_fp16_overflow 0
		.amdhsa_tg_split 0
		.amdhsa_exception_fp_ieee_invalid_op 0
		.amdhsa_exception_fp_denorm_src 0
		.amdhsa_exception_fp_ieee_div_zero 0
		.amdhsa_exception_fp_ieee_overflow 0
		.amdhsa_exception_fp_ieee_underflow 0
		.amdhsa_exception_fp_ieee_inexact 0
		.amdhsa_exception_int_div_zero 0
	.end_amdhsa_kernel
	.section	.text._ZN9rocsparseL18csric0_hash_kernelILj256ELj32ELj1E21rocsparse_complex_numIdEEEviPKiS4_PT2_S4_PiS4_S7_S7_d21rocsparse_index_base_,"axG",@progbits,_ZN9rocsparseL18csric0_hash_kernelILj256ELj32ELj1E21rocsparse_complex_numIdEEEviPKiS4_PT2_S4_PiS4_S7_S7_d21rocsparse_index_base_,comdat
.Lfunc_end40:
	.size	_ZN9rocsparseL18csric0_hash_kernelILj256ELj32ELj1E21rocsparse_complex_numIdEEEviPKiS4_PT2_S4_PiS4_S7_S7_d21rocsparse_index_base_, .Lfunc_end40-_ZN9rocsparseL18csric0_hash_kernelILj256ELj32ELj1E21rocsparse_complex_numIdEEEviPKiS4_PT2_S4_PiS4_S7_S7_d21rocsparse_index_base_
                                        ; -- End function
	.section	.AMDGPU.csdata,"",@progbits
; Kernel info:
; codeLenInByte = 2784
; NumSgprs: 48
; NumVgprs: 50
; NumAgprs: 0
; TotalNumVgprs: 50
; ScratchSize: 0
; MemoryBound: 0
; FloatMode: 240
; IeeeMode: 1
; LDSByteSize: 2048 bytes/workgroup (compile time only)
; SGPRBlocks: 5
; VGPRBlocks: 6
; NumSGPRsForWavesPerEU: 48
; NumVGPRsForWavesPerEU: 50
; AccumOffset: 52
; Occupancy: 8
; WaveLimiterHint : 1
; COMPUTE_PGM_RSRC2:SCRATCH_EN: 0
; COMPUTE_PGM_RSRC2:USER_SGPR: 6
; COMPUTE_PGM_RSRC2:TRAP_HANDLER: 0
; COMPUTE_PGM_RSRC2:TGID_X_EN: 1
; COMPUTE_PGM_RSRC2:TGID_Y_EN: 0
; COMPUTE_PGM_RSRC2:TGID_Z_EN: 0
; COMPUTE_PGM_RSRC2:TIDIG_COMP_CNT: 0
; COMPUTE_PGM_RSRC3_GFX90A:ACCUM_OFFSET: 12
; COMPUTE_PGM_RSRC3_GFX90A:TG_SPLIT: 0
	.section	.text._ZN9rocsparseL18csric0_hash_kernelILj256ELj32ELj2E21rocsparse_complex_numIdEEEviPKiS4_PT2_S4_PiS4_S7_S7_d21rocsparse_index_base_,"axG",@progbits,_ZN9rocsparseL18csric0_hash_kernelILj256ELj32ELj2E21rocsparse_complex_numIdEEEviPKiS4_PT2_S4_PiS4_S7_S7_d21rocsparse_index_base_,comdat
	.globl	_ZN9rocsparseL18csric0_hash_kernelILj256ELj32ELj2E21rocsparse_complex_numIdEEEviPKiS4_PT2_S4_PiS4_S7_S7_d21rocsparse_index_base_ ; -- Begin function _ZN9rocsparseL18csric0_hash_kernelILj256ELj32ELj2E21rocsparse_complex_numIdEEEviPKiS4_PT2_S4_PiS4_S7_S7_d21rocsparse_index_base_
	.p2align	8
	.type	_ZN9rocsparseL18csric0_hash_kernelILj256ELj32ELj2E21rocsparse_complex_numIdEEEviPKiS4_PT2_S4_PiS4_S7_S7_d21rocsparse_index_base_,@function
_ZN9rocsparseL18csric0_hash_kernelILj256ELj32ELj2E21rocsparse_complex_numIdEEEviPKiS4_PT2_S4_PiS4_S7_S7_d21rocsparse_index_base_: ; @_ZN9rocsparseL18csric0_hash_kernelILj256ELj32ELj2E21rocsparse_complex_numIdEEEviPKiS4_PT2_S4_PiS4_S7_S7_d21rocsparse_index_base_
; %bb.0:
	s_load_dword s0, s[4:5], 0x0
	v_lshlrev_b32_e32 v1, 1, v0
	s_lshl_b32 s1, s6, 3
	v_and_b32_e32 v13, 31, v0
	v_and_b32_e32 v1, 0x1c0, v1
	v_mov_b32_e32 v2, 0x800
	v_lshrrev_b32_e32 v0, 5, v0
	s_and_b32 s1, s1, 0x7fffff8
	v_lshl_or_b32 v30, v1, 2, v2
	v_or_b32_e32 v0, s1, v0
	v_lshl_or_b32 v2, v13, 2, v30
	v_mov_b32_e32 v3, -1
	s_waitcnt lgkmcnt(0)
	v_cmp_gt_i32_e32 vcc, s0, v0
	ds_write2_b32 v2, v3, v3 offset1:32
	s_waitcnt lgkmcnt(0)
	s_and_saveexec_b64 s[0:1], vcc
	s_cbranch_execz .LBB41_52
; %bb.1:
	s_load_dwordx8 s[8:15], s[4:5], 0x28
	v_lshlrev_b32_e32 v0, 2, v0
	s_load_dwordx8 s[16:23], s[4:5], 0x8
	s_load_dword s33, s[4:5], 0x50
	s_waitcnt lgkmcnt(0)
	global_load_dword v10, v0, s[10:11]
	v_mov_b32_e32 v3, s17
	v_mov_b32_e32 v0, s23
	s_waitcnt vmcnt(0)
	v_ashrrev_i32_e32 v11, 31, v10
	v_lshlrev_b64 v[8:9], 2, v[10:11]
	v_add_co_u32_e32 v2, vcc, s16, v8
	v_addc_co_u32_e32 v3, vcc, v3, v9, vcc
	global_load_dwordx2 v[2:3], v[2:3], off
	v_add_co_u32_e32 v4, vcc, s22, v8
	v_addc_co_u32_e32 v5, vcc, v0, v9, vcc
	global_load_dword v12, v[4:5], off
	v_lshlrev_b32_e32 v11, 2, v1
	s_waitcnt vmcnt(1)
	v_subrev_u32_e32 v14, s33, v2
	v_subrev_u32_e32 v2, s33, v3
	v_add_u32_e32 v0, v14, v13
	v_cmp_lt_i32_e32 vcc, v0, v2
	s_and_saveexec_b64 s[0:1], vcc
	s_cbranch_execz .LBB41_11
; %bb.2:
	s_mov_b64 s[2:3], 0
	v_mov_b32_e32 v3, s19
	v_mov_b32_e32 v4, -1
	s_branch .LBB41_4
.LBB41_3:                               ;   in Loop: Header=BB41_4 Depth=1
	s_or_b64 exec, exec, s[6:7]
	v_add_u32_e32 v0, 32, v0
	v_cmp_ge_i32_e32 vcc, v0, v2
	s_or_b64 s[2:3], vcc, s[2:3]
	s_andn2_b64 exec, exec, s[2:3]
	s_cbranch_execz .LBB41_11
.LBB41_4:                               ; =>This Loop Header: Depth=1
                                        ;     Child Loop BB41_7 Depth 2
	v_ashrrev_i32_e32 v1, 31, v0
	v_lshlrev_b64 v[6:7], 2, v[0:1]
	v_add_co_u32_e32 v6, vcc, s18, v6
	v_addc_co_u32_e32 v7, vcc, v3, v7, vcc
	global_load_dword v1, v[6:7], off
	s_waitcnt vmcnt(0)
	v_mul_lo_u32 v5, v1, 39
	v_and_b32_e32 v5, 63, v5
	v_lshl_add_u32 v6, v5, 2, v30
	ds_read_b32 v7, v6
	s_waitcnt lgkmcnt(0)
	v_cmp_ne_u32_e32 vcc, v7, v1
	s_and_saveexec_b64 s[6:7], vcc
	s_cbranch_execz .LBB41_3
; %bb.5:                                ;   in Loop: Header=BB41_4 Depth=1
	s_mov_b64 s[10:11], 0
                                        ; implicit-def: $sgpr24_sgpr25
                                        ; implicit-def: $sgpr28_sgpr29
                                        ; implicit-def: $sgpr26_sgpr27
	s_branch .LBB41_7
.LBB41_6:                               ;   in Loop: Header=BB41_7 Depth=2
	s_or_b64 exec, exec, s[30:31]
	s_and_b64 s[30:31], exec, s[28:29]
	s_or_b64 s[10:11], s[30:31], s[10:11]
	s_andn2_b64 s[24:25], s[24:25], exec
	s_and_b64 s[30:31], s[26:27], exec
	s_or_b64 s[24:25], s[24:25], s[30:31]
	s_andn2_b64 exec, exec, s[10:11]
	s_cbranch_execz .LBB41_9
.LBB41_7:                               ;   Parent Loop BB41_4 Depth=1
                                        ; =>  This Inner Loop Header: Depth=2
	ds_cmpst_rtn_b32 v6, v6, v4, v1
	v_mov_b32_e32 v7, v5
	s_or_b64 s[26:27], s[26:27], exec
	s_or_b64 s[28:29], s[28:29], exec
                                        ; implicit-def: $vgpr5
	s_waitcnt lgkmcnt(0)
	v_cmp_ne_u32_e32 vcc, -1, v6
                                        ; implicit-def: $vgpr6
	s_and_saveexec_b64 s[30:31], vcc
	s_cbranch_execz .LBB41_6
; %bb.8:                                ;   in Loop: Header=BB41_7 Depth=2
	v_add_u32_e32 v5, 1, v7
	v_and_b32_e32 v5, 63, v5
	v_lshl_add_u32 v6, v5, 2, v30
	ds_read_b32 v15, v6
	s_andn2_b64 s[28:29], s[28:29], exec
	s_andn2_b64 s[26:27], s[26:27], exec
	s_waitcnt lgkmcnt(0)
	v_cmp_eq_u32_e32 vcc, v15, v1
	s_and_b64 s[34:35], vcc, exec
	s_or_b64 s[28:29], s[28:29], s[34:35]
	s_branch .LBB41_6
.LBB41_9:                               ;   in Loop: Header=BB41_4 Depth=1
	s_or_b64 exec, exec, s[10:11]
	s_and_saveexec_b64 s[10:11], s[24:25]
	s_xor_b64 s[10:11], exec, s[10:11]
	s_cbranch_execz .LBB41_3
; %bb.10:                               ;   in Loop: Header=BB41_4 Depth=1
	v_lshl_add_u32 v1, v7, 2, v11
	ds_write_b32 v1, v0
	s_branch .LBB41_3
.LBB41_11:
	s_or_b64 exec, exec, s[0:1]
	v_pk_mov_b32 v[16:17], 0, 0
	s_waitcnt vmcnt(0)
	v_cmp_lt_i32_e32 vcc, v14, v12
	s_mov_b64 s[10:11], 0
	v_pk_mov_b32 v[18:19], v[16:17], v[16:17] op_sel:[0,1]
	s_waitcnt lgkmcnt(0)
	s_and_saveexec_b64 s[6:7], vcc
	s_cbranch_execz .LBB41_33
; %bb.12:
	v_pk_mov_b32 v[16:17], 0, 0
	v_add_u32_e32 v31, -1, v12
	v_subrev_u32_e32 v32, s33, v13
	v_cmp_eq_u32_e64 s[0:1], 31, v13
	v_mov_b32_e32 v33, s19
	v_mov_b32_e32 v34, s21
	;; [unrolled: 1-line block ×5, first 2 shown]
	v_pk_mov_b32 v[18:19], v[16:17], v[16:17] op_sel:[0,1]
	s_branch .LBB41_15
.LBB41_13:                              ;   in Loop: Header=BB41_15 Depth=1
	s_or_b64 exec, exec, s[24:25]
	v_add_u32_e32 v14, 1, v14
	v_cmp_ge_i32_e32 vcc, v14, v12
	s_orn2_b64 s[24:25], vcc, exec
.LBB41_14:                              ;   in Loop: Header=BB41_15 Depth=1
	s_or_b64 exec, exec, s[2:3]
	s_and_b64 s[2:3], exec, s[24:25]
	s_or_b64 s[10:11], s[2:3], s[10:11]
	s_andn2_b64 exec, exec, s[10:11]
	s_cbranch_execz .LBB41_32
.LBB41_15:                              ; =>This Loop Header: Depth=1
                                        ;     Child Loop BB41_16 Depth 2
                                        ;     Child Loop BB41_22 Depth 2
                                        ;       Child Loop BB41_25 Depth 3
	v_ashrrev_i32_e32 v15, 31, v14
	v_lshlrev_b64 v[0:1], 2, v[14:15]
	v_add_co_u32_e32 v0, vcc, s18, v0
	v_addc_co_u32_e32 v1, vcc, v33, v1, vcc
	global_load_dword v4, v[0:1], off
	v_lshlrev_b64 v[0:1], 4, v[14:15]
	v_add_co_u32_e32 v20, vcc, s20, v0
	v_addc_co_u32_e32 v21, vcc, v34, v1, vcc
	global_load_dwordx4 v[0:3], v[20:21], off
	s_mov_b64 s[2:3], 0
	s_waitcnt vmcnt(1)
	v_subrev_u32_e32 v4, s33, v4
	v_ashrrev_i32_e32 v5, 31, v4
	v_lshlrev_b64 v[4:5], 2, v[4:5]
	v_add_co_u32_e32 v22, vcc, s16, v4
	v_addc_co_u32_e32 v23, vcc, v35, v5, vcc
	v_add_co_u32_e32 v24, vcc, s22, v4
	v_addc_co_u32_e32 v25, vcc, v36, v5, vcc
	global_load_dword v15, v[22:23], off
	global_load_dword v6, v[24:25], off
	v_add_co_u32_e32 v4, vcc, s8, v4
	v_addc_co_u32_e32 v5, vcc, v37, v5, vcc
.LBB41_16:                              ;   Parent Loop BB41_15 Depth=1
                                        ; =>  This Inner Loop Header: Depth=2
	global_load_dword v7, v[4:5], off glc
	s_waitcnt vmcnt(0)
	v_cmp_ne_u32_e32 vcc, 0, v7
	s_or_b64 s[2:3], vcc, s[2:3]
	s_andn2_b64 exec, exec, s[2:3]
	s_cbranch_execnz .LBB41_16
; %bb.17:                               ;   in Loop: Header=BB41_15 Depth=1
	s_or_b64 exec, exec, s[2:3]
	v_cmp_eq_u32_e32 vcc, -1, v6
	v_cndmask_b32_e32 v22, v6, v31, vcc
	v_ashrrev_i32_e32 v23, 31, v22
	v_lshlrev_b64 v[4:5], 4, v[22:23]
	v_add_co_u32_e32 v4, vcc, s20, v4
	v_addc_co_u32_e32 v5, vcc, v34, v5, vcc
	buffer_wbinvl1_vol
	global_load_dwordx4 v[4:7], v[4:5], off
	s_mov_b64 s[24:25], -1
	s_waitcnt vmcnt(0)
	v_cmp_neq_f64_e32 vcc, 0, v[4:5]
	v_cmp_neq_f64_e64 s[2:3], 0, v[6:7]
	s_or_b64 s[26:27], vcc, s[2:3]
	s_and_saveexec_b64 s[2:3], s[26:27]
	s_cbranch_execz .LBB41_14
; %bb.18:                               ;   in Loop: Header=BB41_15 Depth=1
	v_add_u32_e32 v28, v32, v15
	v_pk_mov_b32 v[24:25], 0, 0
	v_cmp_lt_i32_e32 vcc, v28, v22
	v_pk_mov_b32 v[26:27], v[24:25], v[24:25] op_sel:[0,1]
	s_and_saveexec_b64 s[24:25], vcc
	s_cbranch_execz .LBB41_30
; %bb.19:                               ;   in Loop: Header=BB41_15 Depth=1
	v_pk_mov_b32 v[24:25], 0, 0
	s_mov_b64 s[26:27], 0
	v_pk_mov_b32 v[26:27], v[24:25], v[24:25] op_sel:[0,1]
	s_branch .LBB41_22
.LBB41_20:                              ;   in Loop: Header=BB41_22 Depth=2
	s_or_b64 exec, exec, s[30:31]
.LBB41_21:                              ;   in Loop: Header=BB41_22 Depth=2
	s_or_b64 exec, exec, s[28:29]
	v_add_u32_e32 v28, 32, v28
	v_cmp_ge_i32_e32 vcc, v28, v22
	s_or_b64 s[26:27], vcc, s[26:27]
	s_andn2_b64 exec, exec, s[26:27]
	s_cbranch_execz .LBB41_29
.LBB41_22:                              ;   Parent Loop BB41_15 Depth=1
                                        ; =>  This Loop Header: Depth=2
                                        ;       Child Loop BB41_25 Depth 3
	v_ashrrev_i32_e32 v29, 31, v28
	v_lshlrev_b64 v[38:39], 2, v[28:29]
	v_mov_b32_e32 v15, s19
	v_add_co_u32_e32 v38, vcc, s18, v38
	v_addc_co_u32_e32 v39, vcc, v15, v39, vcc
	global_load_dword v15, v[38:39], off
	s_waitcnt vmcnt(0)
	v_mul_lo_u32 v23, v15, 39
	v_and_b32_e32 v39, 63, v23
	v_lshl_add_u32 v23, v39, 2, v30
	ds_read_b32 v38, v23
	s_waitcnt lgkmcnt(0)
	v_cmp_ne_u32_e32 vcc, -1, v38
	s_and_saveexec_b64 s[28:29], vcc
	s_cbranch_execz .LBB41_21
; %bb.23:                               ;   in Loop: Header=BB41_22 Depth=2
	s_mov_b64 s[34:35], 0
                                        ; implicit-def: $sgpr30_sgpr31
                                        ; implicit-def: $sgpr38_sgpr39
                                        ; implicit-def: $sgpr36_sgpr37
	s_branch .LBB41_25
.LBB41_24:                              ;   in Loop: Header=BB41_25 Depth=3
	s_or_b64 exec, exec, s[40:41]
	s_and_b64 s[40:41], exec, s[38:39]
	s_or_b64 s[34:35], s[40:41], s[34:35]
	s_andn2_b64 s[30:31], s[30:31], exec
	s_and_b64 s[40:41], s[36:37], exec
	s_or_b64 s[30:31], s[30:31], s[40:41]
	s_andn2_b64 exec, exec, s[34:35]
	s_cbranch_execz .LBB41_27
.LBB41_25:                              ;   Parent Loop BB41_15 Depth=1
                                        ;     Parent Loop BB41_22 Depth=2
                                        ; =>    This Inner Loop Header: Depth=3
	v_mov_b32_e32 v23, v39
	v_cmp_ne_u32_e32 vcc, v38, v15
	s_or_b64 s[36:37], s[36:37], exec
	s_or_b64 s[38:39], s[38:39], exec
                                        ; implicit-def: $vgpr39
                                        ; implicit-def: $vgpr38
	s_and_saveexec_b64 s[40:41], vcc
	s_cbranch_execz .LBB41_24
; %bb.26:                               ;   in Loop: Header=BB41_25 Depth=3
	v_add_u32_e32 v38, 1, v23
	v_and_b32_e32 v39, 63, v38
	v_lshl_add_u32 v38, v39, 2, v30
	ds_read_b32 v38, v38
	s_andn2_b64 s[38:39], s[38:39], exec
	s_andn2_b64 s[36:37], s[36:37], exec
	s_waitcnt lgkmcnt(0)
	v_cmp_eq_u32_e32 vcc, -1, v38
	s_and_b64 s[42:43], vcc, exec
	s_or_b64 s[38:39], s[38:39], s[42:43]
	s_branch .LBB41_24
.LBB41_27:                              ;   in Loop: Header=BB41_22 Depth=2
	s_or_b64 exec, exec, s[34:35]
	s_and_saveexec_b64 s[34:35], s[30:31]
	s_xor_b64 s[30:31], exec, s[34:35]
	s_cbranch_execz .LBB41_20
; %bb.28:                               ;   in Loop: Header=BB41_22 Depth=2
	v_lshl_add_u32 v15, v23, 2, v11
	ds_read_b32 v38, v15
	v_lshlrev_b64 v[40:41], 4, v[28:29]
	v_mov_b32_e32 v15, s21
	v_add_co_u32_e32 v46, vcc, s20, v40
	s_waitcnt lgkmcnt(0)
	v_ashrrev_i32_e32 v39, 31, v38
	v_addc_co_u32_e32 v47, vcc, v15, v41, vcc
	v_lshlrev_b64 v[38:39], 4, v[38:39]
	v_add_co_u32_e32 v48, vcc, s20, v38
	v_addc_co_u32_e32 v49, vcc, v15, v39, vcc
	global_load_dwordx4 v[38:41], v[46:47], off
	global_load_dwordx4 v[42:45], v[48:49], off
	s_waitcnt vmcnt(0)
	v_fmac_f64_e32 v[26:27], v[38:39], v[42:43]
	v_fmac_f64_e32 v[24:25], v[40:41], v[42:43]
	;; [unrolled: 1-line block ×3, first 2 shown]
	v_fma_f64 v[24:25], v[38:39], -v[44:45], v[24:25]
	s_branch .LBB41_20
.LBB41_29:                              ;   in Loop: Header=BB41_15 Depth=1
	s_or_b64 exec, exec, s[26:27]
.LBB41_30:                              ;   in Loop: Header=BB41_15 Depth=1
	s_or_b64 exec, exec, s[24:25]
	v_mov_b32_dpp v22, v26 row_shr:1 row_mask:0xf bank_mask:0xf
	v_mov_b32_dpp v23, v27 row_shr:1 row_mask:0xf bank_mask:0xf
	v_mov_b32_dpp v28, v24 row_shr:1 row_mask:0xf bank_mask:0xf
	v_mov_b32_dpp v29, v25 row_shr:1 row_mask:0xf bank_mask:0xf
	v_add_f64 v[22:23], v[26:27], v[22:23]
	v_add_f64 v[24:25], v[24:25], v[28:29]
	s_nop 0
	v_mov_b32_dpp v26, v22 row_shr:2 row_mask:0xf bank_mask:0xf
	v_mov_b32_dpp v27, v23 row_shr:2 row_mask:0xf bank_mask:0xf
	v_mov_b32_dpp v28, v24 row_shr:2 row_mask:0xf bank_mask:0xf
	v_mov_b32_dpp v29, v25 row_shr:2 row_mask:0xf bank_mask:0xf
	v_add_f64 v[22:23], v[22:23], v[26:27]
	v_add_f64 v[24:25], v[24:25], v[28:29]
	s_nop 0
	;; [unrolled: 7-line block ×4, first 2 shown]
	v_mov_b32_dpp v26, v22 row_bcast:15 row_mask:0xa bank_mask:0xf
	v_mov_b32_dpp v27, v23 row_bcast:15 row_mask:0xa bank_mask:0xf
	;; [unrolled: 1-line block ×4, first 2 shown]
	s_and_saveexec_b64 s[24:25], s[0:1]
	s_cbranch_execz .LBB41_13
; %bb.31:                               ;   in Loop: Header=BB41_15 Depth=1
	v_mul_f64 v[38:39], v[6:7], v[6:7]
	v_fmac_f64_e32 v[38:39], v[4:5], v[4:5]
	v_div_scale_f64 v[40:41], s[26:27], v[38:39], v[38:39], 1.0
	v_rcp_f64_e32 v[42:43], v[40:41]
	v_div_scale_f64 v[44:45], vcc, 1.0, v[38:39], 1.0
	v_add_f64 v[22:23], v[22:23], v[26:27]
	v_fma_f64 v[46:47], -v[40:41], v[42:43], 1.0
	v_fmac_f64_e32 v[42:43], v[42:43], v[46:47]
	v_fma_f64 v[46:47], -v[40:41], v[42:43], 1.0
	v_fmac_f64_e32 v[42:43], v[42:43], v[46:47]
	v_mul_f64 v[46:47], v[44:45], v[42:43]
	v_fma_f64 v[40:41], -v[40:41], v[46:47], v[44:45]
	v_div_fmas_f64 v[40:41], v[40:41], v[42:43], v[46:47]
	v_div_fixup_f64 v[38:39], v[40:41], v[38:39], 1.0
	v_fma_f64 v[40:41], 0, v[6:7], v[4:5]
	v_fma_f64 v[4:5], v[4:5], 0, -v[6:7]
	v_add_f64 v[6:7], v[24:25], v[28:29]
	v_mul_f64 v[4:5], v[4:5], v[38:39]
	v_add_f64 v[22:23], v[0:1], -v[22:23]
	v_add_f64 v[6:7], v[2:3], -v[6:7]
	v_mul_f64 v[40:41], v[40:41], v[38:39]
	v_mul_f64 v[0:1], v[4:5], -v[6:7]
	v_mul_f64 v[2:3], v[4:5], v[22:23]
	v_fmac_f64_e32 v[0:1], v[22:23], v[40:41]
	v_fmac_f64_e32 v[2:3], v[6:7], v[40:41]
	;; [unrolled: 1-line block ×5, first 2 shown]
	v_fma_f64 v[16:17], v[0:1], -v[2:3], v[16:17]
	global_store_dwordx4 v[20:21], v[0:3], off
	s_branch .LBB41_13
.LBB41_32:
	s_or_b64 exec, exec, s[10:11]
.LBB41_33:
	s_or_b64 exec, exec, s[6:7]
	v_cmp_eq_u32_e64 s[0:1], 31, v13
	v_cmp_lt_i32_e32 vcc, -1, v12
	s_and_b64 s[2:3], s[0:1], vcc
	s_and_saveexec_b64 s[6:7], s[2:3]
	s_cbranch_execz .LBB41_50
; %bb.34:
	v_mov_b32_e32 v13, 0
	v_lshlrev_b64 v[0:1], 4, v[12:13]
	v_mov_b32_e32 v2, s21
	v_add_co_u32_e32 v0, vcc, s20, v0
	v_addc_co_u32_e32 v1, vcc, v2, v1, vcc
	global_load_dwordx4 v[2:5], v[0:1], off
	s_load_dwordx2 s[2:3], s[4:5], 0x48
	s_waitcnt lgkmcnt(0)
	v_mul_f64 v[12:13], s[2:3], s[2:3]
	s_waitcnt vmcnt(0)
	v_add_f64 v[2:3], v[2:3], -v[18:19]
	v_add_f64 v[6:7], v[4:5], -v[16:17]
	v_cmp_le_f64_e32 vcc, v[2:3], v[12:13]
	v_cmp_eq_f64_e64 s[2:3], 0, v[6:7]
	s_and_b64 s[4:5], vcc, s[2:3]
	v_add_u32_e32 v12, s33, v10
	s_and_saveexec_b64 s[2:3], s[4:5]
	s_cbranch_execz .LBB41_39
; %bb.35:
	s_mov_b64 s[4:5], exec
	s_brev_b32 s10, -2
.LBB41_36:                              ; =>This Inner Loop Header: Depth=1
	s_ff1_i32_b64 s11, s[4:5]
	v_readlane_b32 s18, v12, s11
	s_lshl_b64 s[16:17], 1, s11
	s_min_i32 s10, s10, s18
	s_andn2_b64 s[4:5], s[4:5], s[16:17]
	s_cmp_lg_u64 s[4:5], 0
	s_cbranch_scc1 .LBB41_36
; %bb.37:
	v_mbcnt_lo_u32_b32 v4, exec_lo, 0
	v_mbcnt_hi_u32_b32 v4, exec_hi, v4
	v_cmp_eq_u32_e32 vcc, 0, v4
	s_and_saveexec_b64 s[4:5], vcc
	s_xor_b64 s[4:5], exec, s[4:5]
	s_cbranch_execz .LBB41_39
; %bb.38:
	v_mov_b32_e32 v4, 0
	v_mov_b32_e32 v5, s10
	global_atomic_smin v4, v5, s[14:15]
.LBB41_39:
	s_or_b64 exec, exec, s[2:3]
	v_xor_b32_e32 v4, 0x80000000, v3
	v_cmp_gt_f64_e32 vcc, 0, v[2:3]
	v_cndmask_b32_e32 v3, v3, v4, vcc
	v_cndmask_b32_e32 v2, v2, v2, vcc
	v_xor_b32_e32 v4, 0x80000000, v7
	v_cmp_gt_f64_e32 vcc, 0, v[6:7]
	v_cndmask_b32_e32 v5, v7, v4, vcc
	v_cndmask_b32_e32 v4, v6, v6, vcc
	v_cmp_ngt_f64_e32 vcc, v[2:3], v[4:5]
                                        ; implicit-def: $vgpr10_vgpr11
	s_and_saveexec_b64 s[2:3], vcc
	s_xor_b64 s[2:3], exec, s[2:3]
	s_cbranch_execz .LBB41_43
; %bb.40:
	v_cmp_neq_f64_e32 vcc, 0, v[6:7]
	v_pk_mov_b32 v[10:11], 0, 0
	s_and_saveexec_b64 s[4:5], vcc
	s_cbranch_execz .LBB41_42
; %bb.41:
	v_div_scale_f64 v[6:7], s[10:11], v[4:5], v[4:5], v[2:3]
	v_rcp_f64_e32 v[10:11], v[6:7]
	v_div_scale_f64 v[14:15], vcc, v[2:3], v[4:5], v[2:3]
	s_mov_b32 s10, 0
	v_fma_f64 v[16:17], -v[6:7], v[10:11], 1.0
	v_fmac_f64_e32 v[10:11], v[10:11], v[16:17]
	v_fma_f64 v[16:17], -v[6:7], v[10:11], 1.0
	v_fmac_f64_e32 v[10:11], v[10:11], v[16:17]
	v_mul_f64 v[16:17], v[14:15], v[10:11]
	v_fma_f64 v[6:7], -v[6:7], v[16:17], v[14:15]
	v_div_fmas_f64 v[6:7], v[6:7], v[10:11], v[16:17]
	v_div_fixup_f64 v[2:3], v[6:7], v[4:5], v[2:3]
	v_fma_f64 v[2:3], v[2:3], v[2:3], 1.0
	s_brev_b32 s11, 8
	v_cmp_gt_f64_e32 vcc, s[10:11], v[2:3]
	v_cndmask_b32_e64 v6, 0, 1, vcc
	v_lshlrev_b32_e32 v6, 8, v6
	v_ldexp_f64 v[2:3], v[2:3], v6
	v_rsq_f64_e32 v[6:7], v[2:3]
	v_mul_f64 v[10:11], v[2:3], v[6:7]
	v_mul_f64 v[6:7], v[6:7], 0.5
	v_fma_f64 v[14:15], -v[6:7], v[10:11], 0.5
	v_fmac_f64_e32 v[10:11], v[10:11], v[14:15]
	v_fma_f64 v[16:17], -v[10:11], v[10:11], v[2:3]
	v_fmac_f64_e32 v[6:7], v[6:7], v[14:15]
	v_fmac_f64_e32 v[10:11], v[16:17], v[6:7]
	v_fma_f64 v[14:15], -v[10:11], v[10:11], v[2:3]
	v_fmac_f64_e32 v[10:11], v[14:15], v[6:7]
	v_mov_b32_e32 v6, 0xffffff80
	v_cndmask_b32_e32 v6, 0, v6, vcc
	v_ldexp_f64 v[6:7], v[10:11], v6
	v_mov_b32_e32 v10, 0x260
	v_cmp_class_f64_e32 vcc, v[2:3], v10
	v_cndmask_b32_e32 v3, v7, v3, vcc
	v_cndmask_b32_e32 v2, v6, v2, vcc
	v_mul_f64 v[10:11], v[4:5], v[2:3]
.LBB41_42:
	s_or_b64 exec, exec, s[4:5]
                                        ; implicit-def: $vgpr2_vgpr3
                                        ; implicit-def: $vgpr4_vgpr5
.LBB41_43:
	s_andn2_saveexec_b64 s[2:3], s[2:3]
	s_cbranch_execz .LBB41_45
; %bb.44:
	v_div_scale_f64 v[6:7], s[4:5], v[2:3], v[2:3], v[4:5]
	v_rcp_f64_e32 v[10:11], v[6:7]
	v_div_scale_f64 v[14:15], vcc, v[4:5], v[2:3], v[4:5]
	s_mov_b32 s4, 0
	v_fma_f64 v[16:17], -v[6:7], v[10:11], 1.0
	v_fmac_f64_e32 v[10:11], v[10:11], v[16:17]
	v_fma_f64 v[16:17], -v[6:7], v[10:11], 1.0
	v_fmac_f64_e32 v[10:11], v[10:11], v[16:17]
	v_mul_f64 v[16:17], v[14:15], v[10:11]
	v_fma_f64 v[6:7], -v[6:7], v[16:17], v[14:15]
	v_div_fmas_f64 v[6:7], v[6:7], v[10:11], v[16:17]
	v_div_fixup_f64 v[4:5], v[6:7], v[2:3], v[4:5]
	v_fma_f64 v[4:5], v[4:5], v[4:5], 1.0
	s_brev_b32 s5, 8
	v_cmp_gt_f64_e32 vcc, s[4:5], v[4:5]
	v_cndmask_b32_e64 v6, 0, 1, vcc
	v_lshlrev_b32_e32 v6, 8, v6
	v_ldexp_f64 v[4:5], v[4:5], v6
	v_rsq_f64_e32 v[6:7], v[4:5]
	v_mul_f64 v[10:11], v[4:5], v[6:7]
	v_mul_f64 v[6:7], v[6:7], 0.5
	v_fma_f64 v[14:15], -v[6:7], v[10:11], 0.5
	v_fmac_f64_e32 v[10:11], v[10:11], v[14:15]
	v_fma_f64 v[16:17], -v[10:11], v[10:11], v[4:5]
	v_fmac_f64_e32 v[6:7], v[6:7], v[14:15]
	v_fmac_f64_e32 v[10:11], v[16:17], v[6:7]
	v_fma_f64 v[14:15], -v[10:11], v[10:11], v[4:5]
	v_fmac_f64_e32 v[10:11], v[14:15], v[6:7]
	v_mov_b32_e32 v6, 0xffffff80
	v_cndmask_b32_e32 v6, 0, v6, vcc
	v_ldexp_f64 v[6:7], v[10:11], v6
	v_mov_b32_e32 v10, 0x260
	v_cmp_class_f64_e32 vcc, v[4:5], v10
	v_cndmask_b32_e32 v5, v7, v5, vcc
	v_cndmask_b32_e32 v4, v6, v4, vcc
	v_mul_f64 v[10:11], v[2:3], v[4:5]
.LBB41_45:
	s_or_b64 exec, exec, s[2:3]
	s_mov_b32 s2, 0
	s_brev_b32 s3, 8
	v_cmp_gt_f64_e32 vcc, s[2:3], v[10:11]
	v_cndmask_b32_e64 v2, 0, 1, vcc
	v_lshlrev_b32_e32 v2, 8, v2
	v_ldexp_f64 v[2:3], v[10:11], v2
	v_rsq_f64_e32 v[4:5], v[2:3]
	v_mul_f64 v[6:7], v[2:3], v[4:5]
	v_mul_f64 v[4:5], v[4:5], 0.5
	v_fma_f64 v[10:11], -v[4:5], v[6:7], 0.5
	v_fmac_f64_e32 v[6:7], v[6:7], v[10:11]
	v_fma_f64 v[14:15], -v[6:7], v[6:7], v[2:3]
	v_fmac_f64_e32 v[4:5], v[4:5], v[10:11]
	v_fmac_f64_e32 v[6:7], v[14:15], v[4:5]
	v_fma_f64 v[10:11], -v[6:7], v[6:7], v[2:3]
	v_fmac_f64_e32 v[6:7], v[10:11], v[4:5]
	v_mov_b32_e32 v5, 0xffffff80
	v_cndmask_b32_e32 v5, 0, v5, vcc
	v_ldexp_f64 v[6:7], v[6:7], v5
	v_mov_b32_e32 v5, 0x260
	v_cmp_class_f64_e32 vcc, v[2:3], v5
	v_mov_b32_e32 v4, 0
	v_cndmask_b32_e32 v3, v7, v3, vcc
	v_cndmask_b32_e32 v2, v6, v2, vcc
	v_mov_b32_e32 v5, v4
	v_cmp_eq_f64_e32 vcc, 0, v[2:3]
	global_store_dwordx4 v[0:1], v[2:5], off
	s_and_b64 exec, exec, vcc
	s_cbranch_execz .LBB41_50
; %bb.46:
	s_mov_b64 s[2:3], exec
	s_brev_b32 s4, -2
.LBB41_47:                              ; =>This Inner Loop Header: Depth=1
	s_ff1_i32_b64 s5, s[2:3]
	v_readlane_b32 s14, v12, s5
	s_lshl_b64 s[10:11], 1, s5
	s_min_i32 s4, s4, s14
	s_andn2_b64 s[2:3], s[2:3], s[10:11]
	s_cmp_lg_u64 s[2:3], 0
	s_cbranch_scc1 .LBB41_47
; %bb.48:
	v_mbcnt_lo_u32_b32 v0, exec_lo, 0
	v_mbcnt_hi_u32_b32 v0, exec_hi, v0
	v_cmp_eq_u32_e32 vcc, 0, v0
	s_and_saveexec_b64 s[2:3], vcc
	s_xor_b64 s[2:3], exec, s[2:3]
	s_cbranch_execz .LBB41_50
; %bb.49:
	v_mov_b32_e32 v0, 0
	v_mov_b32_e32 v1, s4
	global_atomic_smin v0, v1, s[12:13]
.LBB41_50:
	s_or_b64 exec, exec, s[6:7]
	s_and_b64 exec, exec, s[0:1]
	s_cbranch_execz .LBB41_52
; %bb.51:
	v_mov_b32_e32 v1, s9
	v_add_co_u32_e32 v0, vcc, s8, v8
	v_addc_co_u32_e32 v1, vcc, v1, v9, vcc
	v_mov_b32_e32 v2, 1
	s_waitcnt vmcnt(0)
	global_store_dword v[0:1], v2, off
.LBB41_52:
	s_endpgm
	.section	.rodata,"a",@progbits
	.p2align	6, 0x0
	.amdhsa_kernel _ZN9rocsparseL18csric0_hash_kernelILj256ELj32ELj2E21rocsparse_complex_numIdEEEviPKiS4_PT2_S4_PiS4_S7_S7_d21rocsparse_index_base_
		.amdhsa_group_segment_fixed_size 4096
		.amdhsa_private_segment_fixed_size 0
		.amdhsa_kernarg_size 84
		.amdhsa_user_sgpr_count 6
		.amdhsa_user_sgpr_private_segment_buffer 1
		.amdhsa_user_sgpr_dispatch_ptr 0
		.amdhsa_user_sgpr_queue_ptr 0
		.amdhsa_user_sgpr_kernarg_segment_ptr 1
		.amdhsa_user_sgpr_dispatch_id 0
		.amdhsa_user_sgpr_flat_scratch_init 0
		.amdhsa_user_sgpr_kernarg_preload_length 0
		.amdhsa_user_sgpr_kernarg_preload_offset 0
		.amdhsa_user_sgpr_private_segment_size 0
		.amdhsa_uses_dynamic_stack 0
		.amdhsa_system_sgpr_private_segment_wavefront_offset 0
		.amdhsa_system_sgpr_workgroup_id_x 1
		.amdhsa_system_sgpr_workgroup_id_y 0
		.amdhsa_system_sgpr_workgroup_id_z 0
		.amdhsa_system_sgpr_workgroup_info 0
		.amdhsa_system_vgpr_workitem_id 0
		.amdhsa_next_free_vgpr 50
		.amdhsa_next_free_sgpr 44
		.amdhsa_accum_offset 52
		.amdhsa_reserve_vcc 1
		.amdhsa_reserve_flat_scratch 0
		.amdhsa_float_round_mode_32 0
		.amdhsa_float_round_mode_16_64 0
		.amdhsa_float_denorm_mode_32 3
		.amdhsa_float_denorm_mode_16_64 3
		.amdhsa_dx10_clamp 1
		.amdhsa_ieee_mode 1
		.amdhsa_fp16_overflow 0
		.amdhsa_tg_split 0
		.amdhsa_exception_fp_ieee_invalid_op 0
		.amdhsa_exception_fp_denorm_src 0
		.amdhsa_exception_fp_ieee_div_zero 0
		.amdhsa_exception_fp_ieee_overflow 0
		.amdhsa_exception_fp_ieee_underflow 0
		.amdhsa_exception_fp_ieee_inexact 0
		.amdhsa_exception_int_div_zero 0
	.end_amdhsa_kernel
	.section	.text._ZN9rocsparseL18csric0_hash_kernelILj256ELj32ELj2E21rocsparse_complex_numIdEEEviPKiS4_PT2_S4_PiS4_S7_S7_d21rocsparse_index_base_,"axG",@progbits,_ZN9rocsparseL18csric0_hash_kernelILj256ELj32ELj2E21rocsparse_complex_numIdEEEviPKiS4_PT2_S4_PiS4_S7_S7_d21rocsparse_index_base_,comdat
.Lfunc_end41:
	.size	_ZN9rocsparseL18csric0_hash_kernelILj256ELj32ELj2E21rocsparse_complex_numIdEEEviPKiS4_PT2_S4_PiS4_S7_S7_d21rocsparse_index_base_, .Lfunc_end41-_ZN9rocsparseL18csric0_hash_kernelILj256ELj32ELj2E21rocsparse_complex_numIdEEEviPKiS4_PT2_S4_PiS4_S7_S7_d21rocsparse_index_base_
                                        ; -- End function
	.section	.AMDGPU.csdata,"",@progbits
; Kernel info:
; codeLenInByte = 2788
; NumSgprs: 48
; NumVgprs: 50
; NumAgprs: 0
; TotalNumVgprs: 50
; ScratchSize: 0
; MemoryBound: 0
; FloatMode: 240
; IeeeMode: 1
; LDSByteSize: 4096 bytes/workgroup (compile time only)
; SGPRBlocks: 5
; VGPRBlocks: 6
; NumSGPRsForWavesPerEU: 48
; NumVGPRsForWavesPerEU: 50
; AccumOffset: 52
; Occupancy: 8
; WaveLimiterHint : 1
; COMPUTE_PGM_RSRC2:SCRATCH_EN: 0
; COMPUTE_PGM_RSRC2:USER_SGPR: 6
; COMPUTE_PGM_RSRC2:TRAP_HANDLER: 0
; COMPUTE_PGM_RSRC2:TGID_X_EN: 1
; COMPUTE_PGM_RSRC2:TGID_Y_EN: 0
; COMPUTE_PGM_RSRC2:TGID_Z_EN: 0
; COMPUTE_PGM_RSRC2:TIDIG_COMP_CNT: 0
; COMPUTE_PGM_RSRC3_GFX90A:ACCUM_OFFSET: 12
; COMPUTE_PGM_RSRC3_GFX90A:TG_SPLIT: 0
	.section	.text._ZN9rocsparseL18csric0_hash_kernelILj256ELj32ELj4E21rocsparse_complex_numIdEEEviPKiS4_PT2_S4_PiS4_S7_S7_d21rocsparse_index_base_,"axG",@progbits,_ZN9rocsparseL18csric0_hash_kernelILj256ELj32ELj4E21rocsparse_complex_numIdEEEviPKiS4_PT2_S4_PiS4_S7_S7_d21rocsparse_index_base_,comdat
	.globl	_ZN9rocsparseL18csric0_hash_kernelILj256ELj32ELj4E21rocsparse_complex_numIdEEEviPKiS4_PT2_S4_PiS4_S7_S7_d21rocsparse_index_base_ ; -- Begin function _ZN9rocsparseL18csric0_hash_kernelILj256ELj32ELj4E21rocsparse_complex_numIdEEEviPKiS4_PT2_S4_PiS4_S7_S7_d21rocsparse_index_base_
	.p2align	8
	.type	_ZN9rocsparseL18csric0_hash_kernelILj256ELj32ELj4E21rocsparse_complex_numIdEEEviPKiS4_PT2_S4_PiS4_S7_S7_d21rocsparse_index_base_,@function
_ZN9rocsparseL18csric0_hash_kernelILj256ELj32ELj4E21rocsparse_complex_numIdEEEviPKiS4_PT2_S4_PiS4_S7_S7_d21rocsparse_index_base_: ; @_ZN9rocsparseL18csric0_hash_kernelILj256ELj32ELj4E21rocsparse_complex_numIdEEEviPKiS4_PT2_S4_PiS4_S7_S7_d21rocsparse_index_base_
; %bb.0:
	s_load_dword s0, s[4:5], 0x0
	v_lshlrev_b32_e32 v1, 2, v0
	s_lshl_b32 s1, s6, 3
	v_and_b32_e32 v13, 31, v0
	v_and_b32_e32 v1, 0x380, v1
	v_mov_b32_e32 v2, 0x1000
	v_lshrrev_b32_e32 v0, 5, v0
	s_and_b32 s1, s1, 0x7fffff8
	v_lshl_or_b32 v30, v1, 2, v2
	v_or_b32_e32 v0, s1, v0
	v_lshl_or_b32 v2, v13, 2, v30
	v_mov_b32_e32 v3, -1
	s_waitcnt lgkmcnt(0)
	v_cmp_gt_i32_e32 vcc, s0, v0
	ds_write2_b32 v2, v3, v3 offset1:32
	ds_write2_b32 v2, v3, v3 offset0:64 offset1:96
	s_waitcnt lgkmcnt(0)
	s_and_saveexec_b64 s[0:1], vcc
	s_cbranch_execz .LBB42_52
; %bb.1:
	s_load_dwordx8 s[8:15], s[4:5], 0x28
	v_lshlrev_b32_e32 v0, 2, v0
	s_load_dwordx8 s[16:23], s[4:5], 0x8
	s_load_dword s33, s[4:5], 0x50
	s_waitcnt lgkmcnt(0)
	global_load_dword v10, v0, s[10:11]
	v_mov_b32_e32 v3, s17
	v_mov_b32_e32 v0, s23
	s_waitcnt vmcnt(0)
	v_ashrrev_i32_e32 v11, 31, v10
	v_lshlrev_b64 v[8:9], 2, v[10:11]
	v_add_co_u32_e32 v2, vcc, s16, v8
	v_addc_co_u32_e32 v3, vcc, v3, v9, vcc
	global_load_dwordx2 v[2:3], v[2:3], off
	v_add_co_u32_e32 v4, vcc, s22, v8
	v_addc_co_u32_e32 v5, vcc, v0, v9, vcc
	global_load_dword v12, v[4:5], off
	v_lshlrev_b32_e32 v11, 2, v1
	s_waitcnt vmcnt(1)
	v_subrev_u32_e32 v14, s33, v2
	v_subrev_u32_e32 v2, s33, v3
	v_add_u32_e32 v0, v14, v13
	v_cmp_lt_i32_e32 vcc, v0, v2
	s_and_saveexec_b64 s[0:1], vcc
	s_cbranch_execz .LBB42_11
; %bb.2:
	s_mov_b64 s[2:3], 0
	v_mov_b32_e32 v3, s19
	s_movk_i32 s34, 0x67
	v_mov_b32_e32 v4, -1
	s_branch .LBB42_4
.LBB42_3:                               ;   in Loop: Header=BB42_4 Depth=1
	s_or_b64 exec, exec, s[6:7]
	v_add_u32_e32 v0, 32, v0
	v_cmp_ge_i32_e32 vcc, v0, v2
	s_or_b64 s[2:3], vcc, s[2:3]
	s_andn2_b64 exec, exec, s[2:3]
	s_cbranch_execz .LBB42_11
.LBB42_4:                               ; =>This Loop Header: Depth=1
                                        ;     Child Loop BB42_7 Depth 2
	v_ashrrev_i32_e32 v1, 31, v0
	v_lshlrev_b64 v[6:7], 2, v[0:1]
	v_add_co_u32_e32 v6, vcc, s18, v6
	v_addc_co_u32_e32 v7, vcc, v3, v7, vcc
	global_load_dword v1, v[6:7], off
	s_waitcnt vmcnt(0)
	v_mul_lo_u32 v5, v1, s34
	v_and_b32_e32 v5, 0x7f, v5
	v_lshl_add_u32 v6, v5, 2, v30
	ds_read_b32 v7, v6
	s_waitcnt lgkmcnt(0)
	v_cmp_ne_u32_e32 vcc, v7, v1
	s_and_saveexec_b64 s[6:7], vcc
	s_cbranch_execz .LBB42_3
; %bb.5:                                ;   in Loop: Header=BB42_4 Depth=1
	s_mov_b64 s[10:11], 0
                                        ; implicit-def: $sgpr24_sgpr25
                                        ; implicit-def: $sgpr28_sgpr29
                                        ; implicit-def: $sgpr26_sgpr27
	s_branch .LBB42_7
.LBB42_6:                               ;   in Loop: Header=BB42_7 Depth=2
	s_or_b64 exec, exec, s[30:31]
	s_and_b64 s[30:31], exec, s[28:29]
	s_or_b64 s[10:11], s[30:31], s[10:11]
	s_andn2_b64 s[24:25], s[24:25], exec
	s_and_b64 s[30:31], s[26:27], exec
	s_or_b64 s[24:25], s[24:25], s[30:31]
	s_andn2_b64 exec, exec, s[10:11]
	s_cbranch_execz .LBB42_9
.LBB42_7:                               ;   Parent Loop BB42_4 Depth=1
                                        ; =>  This Inner Loop Header: Depth=2
	ds_cmpst_rtn_b32 v6, v6, v4, v1
	v_mov_b32_e32 v7, v5
	s_or_b64 s[26:27], s[26:27], exec
	s_or_b64 s[28:29], s[28:29], exec
                                        ; implicit-def: $vgpr5
	s_waitcnt lgkmcnt(0)
	v_cmp_ne_u32_e32 vcc, -1, v6
                                        ; implicit-def: $vgpr6
	s_and_saveexec_b64 s[30:31], vcc
	s_cbranch_execz .LBB42_6
; %bb.8:                                ;   in Loop: Header=BB42_7 Depth=2
	v_add_u32_e32 v5, 1, v7
	v_and_b32_e32 v5, 0x7f, v5
	v_lshl_add_u32 v6, v5, 2, v30
	ds_read_b32 v15, v6
	s_andn2_b64 s[28:29], s[28:29], exec
	s_andn2_b64 s[26:27], s[26:27], exec
	s_waitcnt lgkmcnt(0)
	v_cmp_eq_u32_e32 vcc, v15, v1
	s_and_b64 s[36:37], vcc, exec
	s_or_b64 s[28:29], s[28:29], s[36:37]
	s_branch .LBB42_6
.LBB42_9:                               ;   in Loop: Header=BB42_4 Depth=1
	s_or_b64 exec, exec, s[10:11]
	s_and_saveexec_b64 s[10:11], s[24:25]
	s_xor_b64 s[10:11], exec, s[10:11]
	s_cbranch_execz .LBB42_3
; %bb.10:                               ;   in Loop: Header=BB42_4 Depth=1
	v_lshl_add_u32 v1, v7, 2, v11
	ds_write_b32 v1, v0
	s_branch .LBB42_3
.LBB42_11:
	s_or_b64 exec, exec, s[0:1]
	v_pk_mov_b32 v[16:17], 0, 0
	s_waitcnt vmcnt(0)
	v_cmp_lt_i32_e32 vcc, v14, v12
	s_mov_b64 s[10:11], 0
	v_pk_mov_b32 v[18:19], v[16:17], v[16:17] op_sel:[0,1]
	s_waitcnt lgkmcnt(0)
	s_and_saveexec_b64 s[6:7], vcc
	s_cbranch_execz .LBB42_33
; %bb.12:
	v_pk_mov_b32 v[16:17], 0, 0
	v_add_u32_e32 v31, -1, v12
	v_subrev_u32_e32 v32, s33, v13
	v_cmp_eq_u32_e64 s[0:1], 31, v13
	v_mov_b32_e32 v33, s19
	v_mov_b32_e32 v34, s21
	v_mov_b32_e32 v35, s17
	v_mov_b32_e32 v36, s23
	v_mov_b32_e32 v37, s9
	s_movk_i32 s17, 0x67
	v_pk_mov_b32 v[18:19], v[16:17], v[16:17] op_sel:[0,1]
	s_branch .LBB42_15
.LBB42_13:                              ;   in Loop: Header=BB42_15 Depth=1
	s_or_b64 exec, exec, s[24:25]
	v_add_u32_e32 v14, 1, v14
	v_cmp_ge_i32_e32 vcc, v14, v12
	s_orn2_b64 s[24:25], vcc, exec
.LBB42_14:                              ;   in Loop: Header=BB42_15 Depth=1
	s_or_b64 exec, exec, s[2:3]
	s_and_b64 s[2:3], exec, s[24:25]
	s_or_b64 s[10:11], s[2:3], s[10:11]
	s_andn2_b64 exec, exec, s[10:11]
	s_cbranch_execz .LBB42_32
.LBB42_15:                              ; =>This Loop Header: Depth=1
                                        ;     Child Loop BB42_16 Depth 2
                                        ;     Child Loop BB42_22 Depth 2
                                        ;       Child Loop BB42_25 Depth 3
	v_ashrrev_i32_e32 v15, 31, v14
	v_lshlrev_b64 v[0:1], 2, v[14:15]
	v_add_co_u32_e32 v0, vcc, s18, v0
	v_addc_co_u32_e32 v1, vcc, v33, v1, vcc
	global_load_dword v4, v[0:1], off
	v_lshlrev_b64 v[0:1], 4, v[14:15]
	v_add_co_u32_e32 v20, vcc, s20, v0
	v_addc_co_u32_e32 v21, vcc, v34, v1, vcc
	global_load_dwordx4 v[0:3], v[20:21], off
	s_mov_b64 s[2:3], 0
	s_waitcnt vmcnt(1)
	v_subrev_u32_e32 v4, s33, v4
	v_ashrrev_i32_e32 v5, 31, v4
	v_lshlrev_b64 v[4:5], 2, v[4:5]
	v_add_co_u32_e32 v22, vcc, s16, v4
	v_addc_co_u32_e32 v23, vcc, v35, v5, vcc
	v_add_co_u32_e32 v24, vcc, s22, v4
	v_addc_co_u32_e32 v25, vcc, v36, v5, vcc
	global_load_dword v15, v[22:23], off
	global_load_dword v6, v[24:25], off
	v_add_co_u32_e32 v4, vcc, s8, v4
	v_addc_co_u32_e32 v5, vcc, v37, v5, vcc
.LBB42_16:                              ;   Parent Loop BB42_15 Depth=1
                                        ; =>  This Inner Loop Header: Depth=2
	global_load_dword v7, v[4:5], off glc
	s_waitcnt vmcnt(0)
	v_cmp_ne_u32_e32 vcc, 0, v7
	s_or_b64 s[2:3], vcc, s[2:3]
	s_andn2_b64 exec, exec, s[2:3]
	s_cbranch_execnz .LBB42_16
; %bb.17:                               ;   in Loop: Header=BB42_15 Depth=1
	s_or_b64 exec, exec, s[2:3]
	v_cmp_eq_u32_e32 vcc, -1, v6
	v_cndmask_b32_e32 v22, v6, v31, vcc
	v_ashrrev_i32_e32 v23, 31, v22
	v_lshlrev_b64 v[4:5], 4, v[22:23]
	v_add_co_u32_e32 v4, vcc, s20, v4
	v_addc_co_u32_e32 v5, vcc, v34, v5, vcc
	buffer_wbinvl1_vol
	global_load_dwordx4 v[4:7], v[4:5], off
	s_mov_b64 s[24:25], -1
	s_waitcnt vmcnt(0)
	v_cmp_neq_f64_e32 vcc, 0, v[4:5]
	v_cmp_neq_f64_e64 s[2:3], 0, v[6:7]
	s_or_b64 s[26:27], vcc, s[2:3]
	s_and_saveexec_b64 s[2:3], s[26:27]
	s_cbranch_execz .LBB42_14
; %bb.18:                               ;   in Loop: Header=BB42_15 Depth=1
	v_add_u32_e32 v28, v32, v15
	v_pk_mov_b32 v[24:25], 0, 0
	v_cmp_lt_i32_e32 vcc, v28, v22
	v_pk_mov_b32 v[26:27], v[24:25], v[24:25] op_sel:[0,1]
	s_and_saveexec_b64 s[24:25], vcc
	s_cbranch_execz .LBB42_30
; %bb.19:                               ;   in Loop: Header=BB42_15 Depth=1
	v_pk_mov_b32 v[24:25], 0, 0
	s_mov_b64 s[26:27], 0
	v_pk_mov_b32 v[26:27], v[24:25], v[24:25] op_sel:[0,1]
	s_branch .LBB42_22
.LBB42_20:                              ;   in Loop: Header=BB42_22 Depth=2
	s_or_b64 exec, exec, s[30:31]
.LBB42_21:                              ;   in Loop: Header=BB42_22 Depth=2
	s_or_b64 exec, exec, s[28:29]
	v_add_u32_e32 v28, 32, v28
	v_cmp_ge_i32_e32 vcc, v28, v22
	s_or_b64 s[26:27], vcc, s[26:27]
	s_andn2_b64 exec, exec, s[26:27]
	s_cbranch_execz .LBB42_29
.LBB42_22:                              ;   Parent Loop BB42_15 Depth=1
                                        ; =>  This Loop Header: Depth=2
                                        ;       Child Loop BB42_25 Depth 3
	v_ashrrev_i32_e32 v29, 31, v28
	v_lshlrev_b64 v[38:39], 2, v[28:29]
	v_mov_b32_e32 v15, s19
	v_add_co_u32_e32 v38, vcc, s18, v38
	v_addc_co_u32_e32 v39, vcc, v15, v39, vcc
	global_load_dword v15, v[38:39], off
	s_waitcnt vmcnt(0)
	v_mul_lo_u32 v23, v15, s17
	v_and_b32_e32 v39, 0x7f, v23
	v_lshl_add_u32 v23, v39, 2, v30
	ds_read_b32 v38, v23
	s_waitcnt lgkmcnt(0)
	v_cmp_ne_u32_e32 vcc, -1, v38
	s_and_saveexec_b64 s[28:29], vcc
	s_cbranch_execz .LBB42_21
; %bb.23:                               ;   in Loop: Header=BB42_22 Depth=2
	s_mov_b64 s[34:35], 0
                                        ; implicit-def: $sgpr30_sgpr31
                                        ; implicit-def: $sgpr38_sgpr39
                                        ; implicit-def: $sgpr36_sgpr37
	s_branch .LBB42_25
.LBB42_24:                              ;   in Loop: Header=BB42_25 Depth=3
	s_or_b64 exec, exec, s[40:41]
	s_and_b64 s[40:41], exec, s[38:39]
	s_or_b64 s[34:35], s[40:41], s[34:35]
	s_andn2_b64 s[30:31], s[30:31], exec
	s_and_b64 s[40:41], s[36:37], exec
	s_or_b64 s[30:31], s[30:31], s[40:41]
	s_andn2_b64 exec, exec, s[34:35]
	s_cbranch_execz .LBB42_27
.LBB42_25:                              ;   Parent Loop BB42_15 Depth=1
                                        ;     Parent Loop BB42_22 Depth=2
                                        ; =>    This Inner Loop Header: Depth=3
	v_mov_b32_e32 v23, v39
	v_cmp_ne_u32_e32 vcc, v38, v15
	s_or_b64 s[36:37], s[36:37], exec
	s_or_b64 s[38:39], s[38:39], exec
                                        ; implicit-def: $vgpr39
                                        ; implicit-def: $vgpr38
	s_and_saveexec_b64 s[40:41], vcc
	s_cbranch_execz .LBB42_24
; %bb.26:                               ;   in Loop: Header=BB42_25 Depth=3
	v_add_u32_e32 v38, 1, v23
	v_and_b32_e32 v39, 0x7f, v38
	v_lshl_add_u32 v38, v39, 2, v30
	ds_read_b32 v38, v38
	s_andn2_b64 s[38:39], s[38:39], exec
	s_andn2_b64 s[36:37], s[36:37], exec
	s_waitcnt lgkmcnt(0)
	v_cmp_eq_u32_e32 vcc, -1, v38
	s_and_b64 s[42:43], vcc, exec
	s_or_b64 s[38:39], s[38:39], s[42:43]
	s_branch .LBB42_24
.LBB42_27:                              ;   in Loop: Header=BB42_22 Depth=2
	s_or_b64 exec, exec, s[34:35]
	s_and_saveexec_b64 s[34:35], s[30:31]
	s_xor_b64 s[30:31], exec, s[34:35]
	s_cbranch_execz .LBB42_20
; %bb.28:                               ;   in Loop: Header=BB42_22 Depth=2
	v_lshl_add_u32 v15, v23, 2, v11
	ds_read_b32 v38, v15
	v_lshlrev_b64 v[40:41], 4, v[28:29]
	v_mov_b32_e32 v15, s21
	v_add_co_u32_e32 v46, vcc, s20, v40
	s_waitcnt lgkmcnt(0)
	v_ashrrev_i32_e32 v39, 31, v38
	v_addc_co_u32_e32 v47, vcc, v15, v41, vcc
	v_lshlrev_b64 v[38:39], 4, v[38:39]
	v_add_co_u32_e32 v48, vcc, s20, v38
	v_addc_co_u32_e32 v49, vcc, v15, v39, vcc
	global_load_dwordx4 v[38:41], v[46:47], off
	global_load_dwordx4 v[42:45], v[48:49], off
	s_waitcnt vmcnt(0)
	v_fmac_f64_e32 v[26:27], v[38:39], v[42:43]
	v_fmac_f64_e32 v[24:25], v[40:41], v[42:43]
	;; [unrolled: 1-line block ×3, first 2 shown]
	v_fma_f64 v[24:25], v[38:39], -v[44:45], v[24:25]
	s_branch .LBB42_20
.LBB42_29:                              ;   in Loop: Header=BB42_15 Depth=1
	s_or_b64 exec, exec, s[26:27]
.LBB42_30:                              ;   in Loop: Header=BB42_15 Depth=1
	s_or_b64 exec, exec, s[24:25]
	v_mov_b32_dpp v22, v26 row_shr:1 row_mask:0xf bank_mask:0xf
	v_mov_b32_dpp v23, v27 row_shr:1 row_mask:0xf bank_mask:0xf
	v_mov_b32_dpp v28, v24 row_shr:1 row_mask:0xf bank_mask:0xf
	v_mov_b32_dpp v29, v25 row_shr:1 row_mask:0xf bank_mask:0xf
	v_add_f64 v[22:23], v[26:27], v[22:23]
	v_add_f64 v[24:25], v[24:25], v[28:29]
	s_nop 0
	v_mov_b32_dpp v26, v22 row_shr:2 row_mask:0xf bank_mask:0xf
	v_mov_b32_dpp v27, v23 row_shr:2 row_mask:0xf bank_mask:0xf
	v_mov_b32_dpp v28, v24 row_shr:2 row_mask:0xf bank_mask:0xf
	v_mov_b32_dpp v29, v25 row_shr:2 row_mask:0xf bank_mask:0xf
	v_add_f64 v[22:23], v[22:23], v[26:27]
	v_add_f64 v[24:25], v[24:25], v[28:29]
	s_nop 0
	v_mov_b32_dpp v26, v22 row_shr:4 row_mask:0xf bank_mask:0xe
	v_mov_b32_dpp v27, v23 row_shr:4 row_mask:0xf bank_mask:0xe
	v_mov_b32_dpp v28, v24 row_shr:4 row_mask:0xf bank_mask:0xe
	v_mov_b32_dpp v29, v25 row_shr:4 row_mask:0xf bank_mask:0xe
	v_add_f64 v[22:23], v[22:23], v[26:27]
	v_add_f64 v[24:25], v[24:25], v[28:29]
	s_nop 0
	v_mov_b32_dpp v26, v22 row_shr:8 row_mask:0xf bank_mask:0xc
	v_mov_b32_dpp v27, v23 row_shr:8 row_mask:0xf bank_mask:0xc
	v_mov_b32_dpp v28, v24 row_shr:8 row_mask:0xf bank_mask:0xc
	v_mov_b32_dpp v29, v25 row_shr:8 row_mask:0xf bank_mask:0xc
	v_add_f64 v[22:23], v[22:23], v[26:27]
	v_add_f64 v[24:25], v[24:25], v[28:29]
	s_nop 0
	v_mov_b32_dpp v26, v22 row_bcast:15 row_mask:0xa bank_mask:0xf
	v_mov_b32_dpp v27, v23 row_bcast:15 row_mask:0xa bank_mask:0xf
	;; [unrolled: 1-line block ×4, first 2 shown]
	s_and_saveexec_b64 s[24:25], s[0:1]
	s_cbranch_execz .LBB42_13
; %bb.31:                               ;   in Loop: Header=BB42_15 Depth=1
	v_mul_f64 v[38:39], v[6:7], v[6:7]
	v_fmac_f64_e32 v[38:39], v[4:5], v[4:5]
	v_div_scale_f64 v[40:41], s[26:27], v[38:39], v[38:39], 1.0
	v_rcp_f64_e32 v[42:43], v[40:41]
	v_div_scale_f64 v[44:45], vcc, 1.0, v[38:39], 1.0
	v_add_f64 v[22:23], v[22:23], v[26:27]
	v_fma_f64 v[46:47], -v[40:41], v[42:43], 1.0
	v_fmac_f64_e32 v[42:43], v[42:43], v[46:47]
	v_fma_f64 v[46:47], -v[40:41], v[42:43], 1.0
	v_fmac_f64_e32 v[42:43], v[42:43], v[46:47]
	v_mul_f64 v[46:47], v[44:45], v[42:43]
	v_fma_f64 v[40:41], -v[40:41], v[46:47], v[44:45]
	v_div_fmas_f64 v[40:41], v[40:41], v[42:43], v[46:47]
	v_div_fixup_f64 v[38:39], v[40:41], v[38:39], 1.0
	v_fma_f64 v[40:41], 0, v[6:7], v[4:5]
	v_fma_f64 v[4:5], v[4:5], 0, -v[6:7]
	v_add_f64 v[6:7], v[24:25], v[28:29]
	v_mul_f64 v[4:5], v[4:5], v[38:39]
	v_add_f64 v[22:23], v[0:1], -v[22:23]
	v_add_f64 v[6:7], v[2:3], -v[6:7]
	v_mul_f64 v[40:41], v[40:41], v[38:39]
	v_mul_f64 v[0:1], v[4:5], -v[6:7]
	v_mul_f64 v[2:3], v[4:5], v[22:23]
	v_fmac_f64_e32 v[0:1], v[22:23], v[40:41]
	v_fmac_f64_e32 v[2:3], v[6:7], v[40:41]
	;; [unrolled: 1-line block ×5, first 2 shown]
	v_fma_f64 v[16:17], v[0:1], -v[2:3], v[16:17]
	global_store_dwordx4 v[20:21], v[0:3], off
	s_branch .LBB42_13
.LBB42_32:
	s_or_b64 exec, exec, s[10:11]
.LBB42_33:
	s_or_b64 exec, exec, s[6:7]
	v_cmp_eq_u32_e64 s[0:1], 31, v13
	v_cmp_lt_i32_e32 vcc, -1, v12
	s_and_b64 s[2:3], s[0:1], vcc
	s_and_saveexec_b64 s[6:7], s[2:3]
	s_cbranch_execz .LBB42_50
; %bb.34:
	v_mov_b32_e32 v13, 0
	v_lshlrev_b64 v[0:1], 4, v[12:13]
	v_mov_b32_e32 v2, s21
	v_add_co_u32_e32 v0, vcc, s20, v0
	v_addc_co_u32_e32 v1, vcc, v2, v1, vcc
	global_load_dwordx4 v[2:5], v[0:1], off
	s_load_dwordx2 s[2:3], s[4:5], 0x48
	s_waitcnt lgkmcnt(0)
	v_mul_f64 v[12:13], s[2:3], s[2:3]
	s_waitcnt vmcnt(0)
	v_add_f64 v[2:3], v[2:3], -v[18:19]
	v_add_f64 v[6:7], v[4:5], -v[16:17]
	v_cmp_le_f64_e32 vcc, v[2:3], v[12:13]
	v_cmp_eq_f64_e64 s[2:3], 0, v[6:7]
	s_and_b64 s[4:5], vcc, s[2:3]
	v_add_u32_e32 v12, s33, v10
	s_and_saveexec_b64 s[2:3], s[4:5]
	s_cbranch_execz .LBB42_39
; %bb.35:
	s_mov_b64 s[4:5], exec
	s_brev_b32 s10, -2
.LBB42_36:                              ; =>This Inner Loop Header: Depth=1
	s_ff1_i32_b64 s11, s[4:5]
	v_readlane_b32 s18, v12, s11
	s_lshl_b64 s[16:17], 1, s11
	s_min_i32 s10, s10, s18
	s_andn2_b64 s[4:5], s[4:5], s[16:17]
	s_cmp_lg_u64 s[4:5], 0
	s_cbranch_scc1 .LBB42_36
; %bb.37:
	v_mbcnt_lo_u32_b32 v4, exec_lo, 0
	v_mbcnt_hi_u32_b32 v4, exec_hi, v4
	v_cmp_eq_u32_e32 vcc, 0, v4
	s_and_saveexec_b64 s[4:5], vcc
	s_xor_b64 s[4:5], exec, s[4:5]
	s_cbranch_execz .LBB42_39
; %bb.38:
	v_mov_b32_e32 v4, 0
	v_mov_b32_e32 v5, s10
	global_atomic_smin v4, v5, s[14:15]
.LBB42_39:
	s_or_b64 exec, exec, s[2:3]
	v_xor_b32_e32 v4, 0x80000000, v3
	v_cmp_gt_f64_e32 vcc, 0, v[2:3]
	v_cndmask_b32_e32 v3, v3, v4, vcc
	v_cndmask_b32_e32 v2, v2, v2, vcc
	v_xor_b32_e32 v4, 0x80000000, v7
	v_cmp_gt_f64_e32 vcc, 0, v[6:7]
	v_cndmask_b32_e32 v5, v7, v4, vcc
	v_cndmask_b32_e32 v4, v6, v6, vcc
	v_cmp_ngt_f64_e32 vcc, v[2:3], v[4:5]
                                        ; implicit-def: $vgpr10_vgpr11
	s_and_saveexec_b64 s[2:3], vcc
	s_xor_b64 s[2:3], exec, s[2:3]
	s_cbranch_execz .LBB42_43
; %bb.40:
	v_cmp_neq_f64_e32 vcc, 0, v[6:7]
	v_pk_mov_b32 v[10:11], 0, 0
	s_and_saveexec_b64 s[4:5], vcc
	s_cbranch_execz .LBB42_42
; %bb.41:
	v_div_scale_f64 v[6:7], s[10:11], v[4:5], v[4:5], v[2:3]
	v_rcp_f64_e32 v[10:11], v[6:7]
	v_div_scale_f64 v[14:15], vcc, v[2:3], v[4:5], v[2:3]
	s_mov_b32 s10, 0
	v_fma_f64 v[16:17], -v[6:7], v[10:11], 1.0
	v_fmac_f64_e32 v[10:11], v[10:11], v[16:17]
	v_fma_f64 v[16:17], -v[6:7], v[10:11], 1.0
	v_fmac_f64_e32 v[10:11], v[10:11], v[16:17]
	v_mul_f64 v[16:17], v[14:15], v[10:11]
	v_fma_f64 v[6:7], -v[6:7], v[16:17], v[14:15]
	v_div_fmas_f64 v[6:7], v[6:7], v[10:11], v[16:17]
	v_div_fixup_f64 v[2:3], v[6:7], v[4:5], v[2:3]
	v_fma_f64 v[2:3], v[2:3], v[2:3], 1.0
	s_brev_b32 s11, 8
	v_cmp_gt_f64_e32 vcc, s[10:11], v[2:3]
	v_cndmask_b32_e64 v6, 0, 1, vcc
	v_lshlrev_b32_e32 v6, 8, v6
	v_ldexp_f64 v[2:3], v[2:3], v6
	v_rsq_f64_e32 v[6:7], v[2:3]
	v_mul_f64 v[10:11], v[2:3], v[6:7]
	v_mul_f64 v[6:7], v[6:7], 0.5
	v_fma_f64 v[14:15], -v[6:7], v[10:11], 0.5
	v_fmac_f64_e32 v[10:11], v[10:11], v[14:15]
	v_fma_f64 v[16:17], -v[10:11], v[10:11], v[2:3]
	v_fmac_f64_e32 v[6:7], v[6:7], v[14:15]
	v_fmac_f64_e32 v[10:11], v[16:17], v[6:7]
	v_fma_f64 v[14:15], -v[10:11], v[10:11], v[2:3]
	v_fmac_f64_e32 v[10:11], v[14:15], v[6:7]
	v_mov_b32_e32 v6, 0xffffff80
	v_cndmask_b32_e32 v6, 0, v6, vcc
	v_ldexp_f64 v[6:7], v[10:11], v6
	v_mov_b32_e32 v10, 0x260
	v_cmp_class_f64_e32 vcc, v[2:3], v10
	v_cndmask_b32_e32 v3, v7, v3, vcc
	v_cndmask_b32_e32 v2, v6, v2, vcc
	v_mul_f64 v[10:11], v[4:5], v[2:3]
.LBB42_42:
	s_or_b64 exec, exec, s[4:5]
                                        ; implicit-def: $vgpr2_vgpr3
                                        ; implicit-def: $vgpr4_vgpr5
.LBB42_43:
	s_andn2_saveexec_b64 s[2:3], s[2:3]
	s_cbranch_execz .LBB42_45
; %bb.44:
	v_div_scale_f64 v[6:7], s[4:5], v[2:3], v[2:3], v[4:5]
	v_rcp_f64_e32 v[10:11], v[6:7]
	v_div_scale_f64 v[14:15], vcc, v[4:5], v[2:3], v[4:5]
	s_mov_b32 s4, 0
	v_fma_f64 v[16:17], -v[6:7], v[10:11], 1.0
	v_fmac_f64_e32 v[10:11], v[10:11], v[16:17]
	v_fma_f64 v[16:17], -v[6:7], v[10:11], 1.0
	v_fmac_f64_e32 v[10:11], v[10:11], v[16:17]
	v_mul_f64 v[16:17], v[14:15], v[10:11]
	v_fma_f64 v[6:7], -v[6:7], v[16:17], v[14:15]
	v_div_fmas_f64 v[6:7], v[6:7], v[10:11], v[16:17]
	v_div_fixup_f64 v[4:5], v[6:7], v[2:3], v[4:5]
	v_fma_f64 v[4:5], v[4:5], v[4:5], 1.0
	s_brev_b32 s5, 8
	v_cmp_gt_f64_e32 vcc, s[4:5], v[4:5]
	v_cndmask_b32_e64 v6, 0, 1, vcc
	v_lshlrev_b32_e32 v6, 8, v6
	v_ldexp_f64 v[4:5], v[4:5], v6
	v_rsq_f64_e32 v[6:7], v[4:5]
	v_mul_f64 v[10:11], v[4:5], v[6:7]
	v_mul_f64 v[6:7], v[6:7], 0.5
	v_fma_f64 v[14:15], -v[6:7], v[10:11], 0.5
	v_fmac_f64_e32 v[10:11], v[10:11], v[14:15]
	v_fma_f64 v[16:17], -v[10:11], v[10:11], v[4:5]
	v_fmac_f64_e32 v[6:7], v[6:7], v[14:15]
	v_fmac_f64_e32 v[10:11], v[16:17], v[6:7]
	v_fma_f64 v[14:15], -v[10:11], v[10:11], v[4:5]
	v_fmac_f64_e32 v[10:11], v[14:15], v[6:7]
	v_mov_b32_e32 v6, 0xffffff80
	v_cndmask_b32_e32 v6, 0, v6, vcc
	v_ldexp_f64 v[6:7], v[10:11], v6
	v_mov_b32_e32 v10, 0x260
	v_cmp_class_f64_e32 vcc, v[4:5], v10
	v_cndmask_b32_e32 v5, v7, v5, vcc
	v_cndmask_b32_e32 v4, v6, v4, vcc
	v_mul_f64 v[10:11], v[2:3], v[4:5]
.LBB42_45:
	s_or_b64 exec, exec, s[2:3]
	s_mov_b32 s2, 0
	s_brev_b32 s3, 8
	v_cmp_gt_f64_e32 vcc, s[2:3], v[10:11]
	v_cndmask_b32_e64 v2, 0, 1, vcc
	v_lshlrev_b32_e32 v2, 8, v2
	v_ldexp_f64 v[2:3], v[10:11], v2
	v_rsq_f64_e32 v[4:5], v[2:3]
	v_mul_f64 v[6:7], v[2:3], v[4:5]
	v_mul_f64 v[4:5], v[4:5], 0.5
	v_fma_f64 v[10:11], -v[4:5], v[6:7], 0.5
	v_fmac_f64_e32 v[6:7], v[6:7], v[10:11]
	v_fma_f64 v[14:15], -v[6:7], v[6:7], v[2:3]
	v_fmac_f64_e32 v[4:5], v[4:5], v[10:11]
	v_fmac_f64_e32 v[6:7], v[14:15], v[4:5]
	v_fma_f64 v[10:11], -v[6:7], v[6:7], v[2:3]
	v_fmac_f64_e32 v[6:7], v[10:11], v[4:5]
	v_mov_b32_e32 v5, 0xffffff80
	v_cndmask_b32_e32 v5, 0, v5, vcc
	v_ldexp_f64 v[6:7], v[6:7], v5
	v_mov_b32_e32 v5, 0x260
	v_cmp_class_f64_e32 vcc, v[2:3], v5
	v_mov_b32_e32 v4, 0
	v_cndmask_b32_e32 v3, v7, v3, vcc
	v_cndmask_b32_e32 v2, v6, v2, vcc
	v_mov_b32_e32 v5, v4
	v_cmp_eq_f64_e32 vcc, 0, v[2:3]
	global_store_dwordx4 v[0:1], v[2:5], off
	s_and_b64 exec, exec, vcc
	s_cbranch_execz .LBB42_50
; %bb.46:
	s_mov_b64 s[2:3], exec
	s_brev_b32 s4, -2
.LBB42_47:                              ; =>This Inner Loop Header: Depth=1
	s_ff1_i32_b64 s5, s[2:3]
	v_readlane_b32 s14, v12, s5
	s_lshl_b64 s[10:11], 1, s5
	s_min_i32 s4, s4, s14
	s_andn2_b64 s[2:3], s[2:3], s[10:11]
	s_cmp_lg_u64 s[2:3], 0
	s_cbranch_scc1 .LBB42_47
; %bb.48:
	v_mbcnt_lo_u32_b32 v0, exec_lo, 0
	v_mbcnt_hi_u32_b32 v0, exec_hi, v0
	v_cmp_eq_u32_e32 vcc, 0, v0
	s_and_saveexec_b64 s[2:3], vcc
	s_xor_b64 s[2:3], exec, s[2:3]
	s_cbranch_execz .LBB42_50
; %bb.49:
	v_mov_b32_e32 v0, 0
	v_mov_b32_e32 v1, s4
	global_atomic_smin v0, v1, s[12:13]
.LBB42_50:
	s_or_b64 exec, exec, s[6:7]
	s_and_b64 exec, exec, s[0:1]
	s_cbranch_execz .LBB42_52
; %bb.51:
	v_mov_b32_e32 v1, s9
	v_add_co_u32_e32 v0, vcc, s8, v8
	v_addc_co_u32_e32 v1, vcc, v1, v9, vcc
	v_mov_b32_e32 v2, 1
	s_waitcnt vmcnt(0)
	global_store_dword v[0:1], v2, off
.LBB42_52:
	s_endpgm
	.section	.rodata,"a",@progbits
	.p2align	6, 0x0
	.amdhsa_kernel _ZN9rocsparseL18csric0_hash_kernelILj256ELj32ELj4E21rocsparse_complex_numIdEEEviPKiS4_PT2_S4_PiS4_S7_S7_d21rocsparse_index_base_
		.amdhsa_group_segment_fixed_size 8192
		.amdhsa_private_segment_fixed_size 0
		.amdhsa_kernarg_size 84
		.amdhsa_user_sgpr_count 6
		.amdhsa_user_sgpr_private_segment_buffer 1
		.amdhsa_user_sgpr_dispatch_ptr 0
		.amdhsa_user_sgpr_queue_ptr 0
		.amdhsa_user_sgpr_kernarg_segment_ptr 1
		.amdhsa_user_sgpr_dispatch_id 0
		.amdhsa_user_sgpr_flat_scratch_init 0
		.amdhsa_user_sgpr_kernarg_preload_length 0
		.amdhsa_user_sgpr_kernarg_preload_offset 0
		.amdhsa_user_sgpr_private_segment_size 0
		.amdhsa_uses_dynamic_stack 0
		.amdhsa_system_sgpr_private_segment_wavefront_offset 0
		.amdhsa_system_sgpr_workgroup_id_x 1
		.amdhsa_system_sgpr_workgroup_id_y 0
		.amdhsa_system_sgpr_workgroup_id_z 0
		.amdhsa_system_sgpr_workgroup_info 0
		.amdhsa_system_vgpr_workitem_id 0
		.amdhsa_next_free_vgpr 50
		.amdhsa_next_free_sgpr 44
		.amdhsa_accum_offset 52
		.amdhsa_reserve_vcc 1
		.amdhsa_reserve_flat_scratch 0
		.amdhsa_float_round_mode_32 0
		.amdhsa_float_round_mode_16_64 0
		.amdhsa_float_denorm_mode_32 3
		.amdhsa_float_denorm_mode_16_64 3
		.amdhsa_dx10_clamp 1
		.amdhsa_ieee_mode 1
		.amdhsa_fp16_overflow 0
		.amdhsa_tg_split 0
		.amdhsa_exception_fp_ieee_invalid_op 0
		.amdhsa_exception_fp_denorm_src 0
		.amdhsa_exception_fp_ieee_div_zero 0
		.amdhsa_exception_fp_ieee_overflow 0
		.amdhsa_exception_fp_ieee_underflow 0
		.amdhsa_exception_fp_ieee_inexact 0
		.amdhsa_exception_int_div_zero 0
	.end_amdhsa_kernel
	.section	.text._ZN9rocsparseL18csric0_hash_kernelILj256ELj32ELj4E21rocsparse_complex_numIdEEEviPKiS4_PT2_S4_PiS4_S7_S7_d21rocsparse_index_base_,"axG",@progbits,_ZN9rocsparseL18csric0_hash_kernelILj256ELj32ELj4E21rocsparse_complex_numIdEEEviPKiS4_PT2_S4_PiS4_S7_S7_d21rocsparse_index_base_,comdat
.Lfunc_end42:
	.size	_ZN9rocsparseL18csric0_hash_kernelILj256ELj32ELj4E21rocsparse_complex_numIdEEEviPKiS4_PT2_S4_PiS4_S7_S7_d21rocsparse_index_base_, .Lfunc_end42-_ZN9rocsparseL18csric0_hash_kernelILj256ELj32ELj4E21rocsparse_complex_numIdEEEviPKiS4_PT2_S4_PiS4_S7_S7_d21rocsparse_index_base_
                                        ; -- End function
	.section	.AMDGPU.csdata,"",@progbits
; Kernel info:
; codeLenInByte = 2820
; NumSgprs: 48
; NumVgprs: 50
; NumAgprs: 0
; TotalNumVgprs: 50
; ScratchSize: 0
; MemoryBound: 0
; FloatMode: 240
; IeeeMode: 1
; LDSByteSize: 8192 bytes/workgroup (compile time only)
; SGPRBlocks: 5
; VGPRBlocks: 6
; NumSGPRsForWavesPerEU: 48
; NumVGPRsForWavesPerEU: 50
; AccumOffset: 52
; Occupancy: 8
; WaveLimiterHint : 1
; COMPUTE_PGM_RSRC2:SCRATCH_EN: 0
; COMPUTE_PGM_RSRC2:USER_SGPR: 6
; COMPUTE_PGM_RSRC2:TRAP_HANDLER: 0
; COMPUTE_PGM_RSRC2:TGID_X_EN: 1
; COMPUTE_PGM_RSRC2:TGID_Y_EN: 0
; COMPUTE_PGM_RSRC2:TGID_Z_EN: 0
; COMPUTE_PGM_RSRC2:TIDIG_COMP_CNT: 0
; COMPUTE_PGM_RSRC3_GFX90A:ACCUM_OFFSET: 12
; COMPUTE_PGM_RSRC3_GFX90A:TG_SPLIT: 0
	.section	.text._ZN9rocsparseL18csric0_hash_kernelILj256ELj32ELj8E21rocsparse_complex_numIdEEEviPKiS4_PT2_S4_PiS4_S7_S7_d21rocsparse_index_base_,"axG",@progbits,_ZN9rocsparseL18csric0_hash_kernelILj256ELj32ELj8E21rocsparse_complex_numIdEEEviPKiS4_PT2_S4_PiS4_S7_S7_d21rocsparse_index_base_,comdat
	.globl	_ZN9rocsparseL18csric0_hash_kernelILj256ELj32ELj8E21rocsparse_complex_numIdEEEviPKiS4_PT2_S4_PiS4_S7_S7_d21rocsparse_index_base_ ; -- Begin function _ZN9rocsparseL18csric0_hash_kernelILj256ELj32ELj8E21rocsparse_complex_numIdEEEviPKiS4_PT2_S4_PiS4_S7_S7_d21rocsparse_index_base_
	.p2align	8
	.type	_ZN9rocsparseL18csric0_hash_kernelILj256ELj32ELj8E21rocsparse_complex_numIdEEEviPKiS4_PT2_S4_PiS4_S7_S7_d21rocsparse_index_base_,@function
_ZN9rocsparseL18csric0_hash_kernelILj256ELj32ELj8E21rocsparse_complex_numIdEEEviPKiS4_PT2_S4_PiS4_S7_S7_d21rocsparse_index_base_: ; @_ZN9rocsparseL18csric0_hash_kernelILj256ELj32ELj8E21rocsparse_complex_numIdEEEviPKiS4_PT2_S4_PiS4_S7_S7_d21rocsparse_index_base_
; %bb.0:
	s_load_dword s0, s[4:5], 0x0
	v_lshlrev_b32_e32 v1, 3, v0
	s_lshl_b32 s1, s6, 3
	v_and_b32_e32 v13, 31, v0
	v_and_b32_e32 v1, 0x700, v1
	v_mov_b32_e32 v2, 0x2000
	v_lshrrev_b32_e32 v0, 5, v0
	s_and_b32 s1, s1, 0x7fffff8
	v_lshl_or_b32 v30, v1, 2, v2
	v_or_b32_e32 v0, s1, v0
	v_lshl_or_b32 v2, v13, 2, v30
	v_mov_b32_e32 v3, -1
	s_waitcnt lgkmcnt(0)
	v_cmp_gt_i32_e32 vcc, s0, v0
	ds_write2_b32 v2, v3, v3 offset1:32
	ds_write2_b32 v2, v3, v3 offset0:64 offset1:96
	ds_write2_b32 v2, v3, v3 offset0:128 offset1:160
	;; [unrolled: 1-line block ×3, first 2 shown]
	s_waitcnt lgkmcnt(0)
	s_and_saveexec_b64 s[0:1], vcc
	s_cbranch_execz .LBB43_52
; %bb.1:
	s_load_dwordx8 s[8:15], s[4:5], 0x28
	v_lshlrev_b32_e32 v0, 2, v0
	s_load_dwordx8 s[16:23], s[4:5], 0x8
	s_load_dword s33, s[4:5], 0x50
	s_waitcnt lgkmcnt(0)
	global_load_dword v10, v0, s[10:11]
	v_mov_b32_e32 v3, s17
	v_mov_b32_e32 v0, s23
	s_waitcnt vmcnt(0)
	v_ashrrev_i32_e32 v11, 31, v10
	v_lshlrev_b64 v[8:9], 2, v[10:11]
	v_add_co_u32_e32 v2, vcc, s16, v8
	v_addc_co_u32_e32 v3, vcc, v3, v9, vcc
	global_load_dwordx2 v[2:3], v[2:3], off
	v_add_co_u32_e32 v4, vcc, s22, v8
	v_addc_co_u32_e32 v5, vcc, v0, v9, vcc
	global_load_dword v12, v[4:5], off
	v_lshlrev_b32_e32 v11, 2, v1
	s_waitcnt vmcnt(1)
	v_subrev_u32_e32 v14, s33, v2
	v_subrev_u32_e32 v2, s33, v3
	v_add_u32_e32 v0, v14, v13
	v_cmp_lt_i32_e32 vcc, v0, v2
	s_and_saveexec_b64 s[0:1], vcc
	s_cbranch_execz .LBB43_11
; %bb.2:
	s_mov_b64 s[2:3], 0
	v_mov_b32_e32 v3, s19
	s_movk_i32 s34, 0x67
	v_mov_b32_e32 v4, -1
	s_branch .LBB43_4
.LBB43_3:                               ;   in Loop: Header=BB43_4 Depth=1
	s_or_b64 exec, exec, s[6:7]
	v_add_u32_e32 v0, 32, v0
	v_cmp_ge_i32_e32 vcc, v0, v2
	s_or_b64 s[2:3], vcc, s[2:3]
	s_andn2_b64 exec, exec, s[2:3]
	s_cbranch_execz .LBB43_11
.LBB43_4:                               ; =>This Loop Header: Depth=1
                                        ;     Child Loop BB43_7 Depth 2
	v_ashrrev_i32_e32 v1, 31, v0
	v_lshlrev_b64 v[6:7], 2, v[0:1]
	v_add_co_u32_e32 v6, vcc, s18, v6
	v_addc_co_u32_e32 v7, vcc, v3, v7, vcc
	global_load_dword v1, v[6:7], off
	s_waitcnt vmcnt(0)
	v_mul_lo_u32 v5, v1, s34
	v_and_b32_e32 v5, 0xff, v5
	v_lshl_add_u32 v6, v5, 2, v30
	ds_read_b32 v7, v6
	s_waitcnt lgkmcnt(0)
	v_cmp_ne_u32_e32 vcc, v7, v1
	s_and_saveexec_b64 s[6:7], vcc
	s_cbranch_execz .LBB43_3
; %bb.5:                                ;   in Loop: Header=BB43_4 Depth=1
	s_mov_b64 s[10:11], 0
                                        ; implicit-def: $sgpr24_sgpr25
                                        ; implicit-def: $sgpr28_sgpr29
                                        ; implicit-def: $sgpr26_sgpr27
	s_branch .LBB43_7
.LBB43_6:                               ;   in Loop: Header=BB43_7 Depth=2
	s_or_b64 exec, exec, s[30:31]
	s_and_b64 s[30:31], exec, s[28:29]
	s_or_b64 s[10:11], s[30:31], s[10:11]
	s_andn2_b64 s[24:25], s[24:25], exec
	s_and_b64 s[30:31], s[26:27], exec
	s_or_b64 s[24:25], s[24:25], s[30:31]
	s_andn2_b64 exec, exec, s[10:11]
	s_cbranch_execz .LBB43_9
.LBB43_7:                               ;   Parent Loop BB43_4 Depth=1
                                        ; =>  This Inner Loop Header: Depth=2
	ds_cmpst_rtn_b32 v6, v6, v4, v1
	v_mov_b32_e32 v7, v5
	s_or_b64 s[26:27], s[26:27], exec
	s_or_b64 s[28:29], s[28:29], exec
                                        ; implicit-def: $vgpr5
	s_waitcnt lgkmcnt(0)
	v_cmp_ne_u32_e32 vcc, -1, v6
                                        ; implicit-def: $vgpr6
	s_and_saveexec_b64 s[30:31], vcc
	s_cbranch_execz .LBB43_6
; %bb.8:                                ;   in Loop: Header=BB43_7 Depth=2
	v_add_u32_e32 v5, 1, v7
	v_and_b32_e32 v5, 0xff, v5
	v_lshl_add_u32 v6, v5, 2, v30
	ds_read_b32 v15, v6
	s_andn2_b64 s[28:29], s[28:29], exec
	s_andn2_b64 s[26:27], s[26:27], exec
	s_waitcnt lgkmcnt(0)
	v_cmp_eq_u32_e32 vcc, v15, v1
	s_and_b64 s[36:37], vcc, exec
	s_or_b64 s[28:29], s[28:29], s[36:37]
	s_branch .LBB43_6
.LBB43_9:                               ;   in Loop: Header=BB43_4 Depth=1
	s_or_b64 exec, exec, s[10:11]
	s_and_saveexec_b64 s[10:11], s[24:25]
	s_xor_b64 s[10:11], exec, s[10:11]
	s_cbranch_execz .LBB43_3
; %bb.10:                               ;   in Loop: Header=BB43_4 Depth=1
	v_lshl_add_u32 v1, v7, 2, v11
	ds_write_b32 v1, v0
	s_branch .LBB43_3
.LBB43_11:
	s_or_b64 exec, exec, s[0:1]
	v_pk_mov_b32 v[16:17], 0, 0
	s_waitcnt vmcnt(0)
	v_cmp_lt_i32_e32 vcc, v14, v12
	s_mov_b64 s[10:11], 0
	v_pk_mov_b32 v[18:19], v[16:17], v[16:17] op_sel:[0,1]
	s_waitcnt lgkmcnt(0)
	s_and_saveexec_b64 s[6:7], vcc
	s_cbranch_execz .LBB43_33
; %bb.12:
	v_pk_mov_b32 v[16:17], 0, 0
	v_add_u32_e32 v31, -1, v12
	v_subrev_u32_e32 v32, s33, v13
	v_cmp_eq_u32_e64 s[0:1], 31, v13
	v_mov_b32_e32 v33, s19
	v_mov_b32_e32 v34, s21
	;; [unrolled: 1-line block ×5, first 2 shown]
	s_movk_i32 s17, 0x67
	v_pk_mov_b32 v[18:19], v[16:17], v[16:17] op_sel:[0,1]
	s_branch .LBB43_15
.LBB43_13:                              ;   in Loop: Header=BB43_15 Depth=1
	s_or_b64 exec, exec, s[24:25]
	v_add_u32_e32 v14, 1, v14
	v_cmp_ge_i32_e32 vcc, v14, v12
	s_orn2_b64 s[24:25], vcc, exec
.LBB43_14:                              ;   in Loop: Header=BB43_15 Depth=1
	s_or_b64 exec, exec, s[2:3]
	s_and_b64 s[2:3], exec, s[24:25]
	s_or_b64 s[10:11], s[2:3], s[10:11]
	s_andn2_b64 exec, exec, s[10:11]
	s_cbranch_execz .LBB43_32
.LBB43_15:                              ; =>This Loop Header: Depth=1
                                        ;     Child Loop BB43_16 Depth 2
                                        ;     Child Loop BB43_22 Depth 2
                                        ;       Child Loop BB43_25 Depth 3
	v_ashrrev_i32_e32 v15, 31, v14
	v_lshlrev_b64 v[0:1], 2, v[14:15]
	v_add_co_u32_e32 v0, vcc, s18, v0
	v_addc_co_u32_e32 v1, vcc, v33, v1, vcc
	global_load_dword v4, v[0:1], off
	v_lshlrev_b64 v[0:1], 4, v[14:15]
	v_add_co_u32_e32 v20, vcc, s20, v0
	v_addc_co_u32_e32 v21, vcc, v34, v1, vcc
	global_load_dwordx4 v[0:3], v[20:21], off
	s_mov_b64 s[2:3], 0
	s_waitcnt vmcnt(1)
	v_subrev_u32_e32 v4, s33, v4
	v_ashrrev_i32_e32 v5, 31, v4
	v_lshlrev_b64 v[4:5], 2, v[4:5]
	v_add_co_u32_e32 v22, vcc, s16, v4
	v_addc_co_u32_e32 v23, vcc, v35, v5, vcc
	v_add_co_u32_e32 v24, vcc, s22, v4
	v_addc_co_u32_e32 v25, vcc, v36, v5, vcc
	global_load_dword v15, v[22:23], off
	global_load_dword v6, v[24:25], off
	v_add_co_u32_e32 v4, vcc, s8, v4
	v_addc_co_u32_e32 v5, vcc, v37, v5, vcc
.LBB43_16:                              ;   Parent Loop BB43_15 Depth=1
                                        ; =>  This Inner Loop Header: Depth=2
	global_load_dword v7, v[4:5], off glc
	s_waitcnt vmcnt(0)
	v_cmp_ne_u32_e32 vcc, 0, v7
	s_or_b64 s[2:3], vcc, s[2:3]
	s_andn2_b64 exec, exec, s[2:3]
	s_cbranch_execnz .LBB43_16
; %bb.17:                               ;   in Loop: Header=BB43_15 Depth=1
	s_or_b64 exec, exec, s[2:3]
	v_cmp_eq_u32_e32 vcc, -1, v6
	v_cndmask_b32_e32 v22, v6, v31, vcc
	v_ashrrev_i32_e32 v23, 31, v22
	v_lshlrev_b64 v[4:5], 4, v[22:23]
	v_add_co_u32_e32 v4, vcc, s20, v4
	v_addc_co_u32_e32 v5, vcc, v34, v5, vcc
	buffer_wbinvl1_vol
	global_load_dwordx4 v[4:7], v[4:5], off
	s_mov_b64 s[24:25], -1
	s_waitcnt vmcnt(0)
	v_cmp_neq_f64_e32 vcc, 0, v[4:5]
	v_cmp_neq_f64_e64 s[2:3], 0, v[6:7]
	s_or_b64 s[26:27], vcc, s[2:3]
	s_and_saveexec_b64 s[2:3], s[26:27]
	s_cbranch_execz .LBB43_14
; %bb.18:                               ;   in Loop: Header=BB43_15 Depth=1
	v_add_u32_e32 v28, v32, v15
	v_pk_mov_b32 v[24:25], 0, 0
	v_cmp_lt_i32_e32 vcc, v28, v22
	v_pk_mov_b32 v[26:27], v[24:25], v[24:25] op_sel:[0,1]
	s_and_saveexec_b64 s[24:25], vcc
	s_cbranch_execz .LBB43_30
; %bb.19:                               ;   in Loop: Header=BB43_15 Depth=1
	v_pk_mov_b32 v[24:25], 0, 0
	s_mov_b64 s[26:27], 0
	v_pk_mov_b32 v[26:27], v[24:25], v[24:25] op_sel:[0,1]
	s_branch .LBB43_22
.LBB43_20:                              ;   in Loop: Header=BB43_22 Depth=2
	s_or_b64 exec, exec, s[30:31]
.LBB43_21:                              ;   in Loop: Header=BB43_22 Depth=2
	s_or_b64 exec, exec, s[28:29]
	v_add_u32_e32 v28, 32, v28
	v_cmp_ge_i32_e32 vcc, v28, v22
	s_or_b64 s[26:27], vcc, s[26:27]
	s_andn2_b64 exec, exec, s[26:27]
	s_cbranch_execz .LBB43_29
.LBB43_22:                              ;   Parent Loop BB43_15 Depth=1
                                        ; =>  This Loop Header: Depth=2
                                        ;       Child Loop BB43_25 Depth 3
	v_ashrrev_i32_e32 v29, 31, v28
	v_lshlrev_b64 v[38:39], 2, v[28:29]
	v_add_co_u32_e32 v38, vcc, s18, v38
	v_addc_co_u32_e32 v39, vcc, v33, v39, vcc
	global_load_dword v15, v[38:39], off
	s_waitcnt vmcnt(0)
	v_mul_lo_u32 v23, v15, s17
	v_and_b32_e32 v39, 0xff, v23
	v_lshl_add_u32 v23, v39, 2, v30
	ds_read_b32 v38, v23
	s_waitcnt lgkmcnt(0)
	v_cmp_ne_u32_e32 vcc, -1, v38
	s_and_saveexec_b64 s[28:29], vcc
	s_cbranch_execz .LBB43_21
; %bb.23:                               ;   in Loop: Header=BB43_22 Depth=2
	s_mov_b64 s[34:35], 0
                                        ; implicit-def: $sgpr30_sgpr31
                                        ; implicit-def: $sgpr38_sgpr39
                                        ; implicit-def: $sgpr36_sgpr37
	s_branch .LBB43_25
.LBB43_24:                              ;   in Loop: Header=BB43_25 Depth=3
	s_or_b64 exec, exec, s[40:41]
	s_and_b64 s[40:41], exec, s[38:39]
	s_or_b64 s[34:35], s[40:41], s[34:35]
	s_andn2_b64 s[30:31], s[30:31], exec
	s_and_b64 s[40:41], s[36:37], exec
	s_or_b64 s[30:31], s[30:31], s[40:41]
	s_andn2_b64 exec, exec, s[34:35]
	s_cbranch_execz .LBB43_27
.LBB43_25:                              ;   Parent Loop BB43_15 Depth=1
                                        ;     Parent Loop BB43_22 Depth=2
                                        ; =>    This Inner Loop Header: Depth=3
	v_mov_b32_e32 v23, v39
	v_cmp_ne_u32_e32 vcc, v38, v15
	s_or_b64 s[36:37], s[36:37], exec
	s_or_b64 s[38:39], s[38:39], exec
                                        ; implicit-def: $vgpr39
                                        ; implicit-def: $vgpr38
	s_and_saveexec_b64 s[40:41], vcc
	s_cbranch_execz .LBB43_24
; %bb.26:                               ;   in Loop: Header=BB43_25 Depth=3
	v_add_u32_e32 v38, 1, v23
	v_and_b32_e32 v39, 0xff, v38
	v_lshl_add_u32 v38, v39, 2, v30
	ds_read_b32 v38, v38
	s_andn2_b64 s[38:39], s[38:39], exec
	s_andn2_b64 s[36:37], s[36:37], exec
	s_waitcnt lgkmcnt(0)
	v_cmp_eq_u32_e32 vcc, -1, v38
	s_and_b64 s[42:43], vcc, exec
	s_or_b64 s[38:39], s[38:39], s[42:43]
	s_branch .LBB43_24
.LBB43_27:                              ;   in Loop: Header=BB43_22 Depth=2
	s_or_b64 exec, exec, s[34:35]
	s_and_saveexec_b64 s[34:35], s[30:31]
	s_xor_b64 s[30:31], exec, s[34:35]
	s_cbranch_execz .LBB43_20
; %bb.28:                               ;   in Loop: Header=BB43_22 Depth=2
	v_lshl_add_u32 v15, v23, 2, v11
	ds_read_b32 v38, v15
	v_lshlrev_b64 v[40:41], 4, v[28:29]
	v_add_co_u32_e32 v46, vcc, s20, v40
	v_addc_co_u32_e32 v47, vcc, v34, v41, vcc
	s_waitcnt lgkmcnt(0)
	v_ashrrev_i32_e32 v39, 31, v38
	v_lshlrev_b64 v[38:39], 4, v[38:39]
	v_add_co_u32_e32 v48, vcc, s20, v38
	v_addc_co_u32_e32 v49, vcc, v34, v39, vcc
	global_load_dwordx4 v[38:41], v[46:47], off
	global_load_dwordx4 v[42:45], v[48:49], off
	s_waitcnt vmcnt(0)
	v_fmac_f64_e32 v[26:27], v[38:39], v[42:43]
	v_fmac_f64_e32 v[24:25], v[40:41], v[42:43]
	;; [unrolled: 1-line block ×3, first 2 shown]
	v_fma_f64 v[24:25], v[38:39], -v[44:45], v[24:25]
	s_branch .LBB43_20
.LBB43_29:                              ;   in Loop: Header=BB43_15 Depth=1
	s_or_b64 exec, exec, s[26:27]
.LBB43_30:                              ;   in Loop: Header=BB43_15 Depth=1
	s_or_b64 exec, exec, s[24:25]
	v_mov_b32_dpp v22, v26 row_shr:1 row_mask:0xf bank_mask:0xf
	v_mov_b32_dpp v23, v27 row_shr:1 row_mask:0xf bank_mask:0xf
	v_mov_b32_dpp v28, v24 row_shr:1 row_mask:0xf bank_mask:0xf
	v_mov_b32_dpp v29, v25 row_shr:1 row_mask:0xf bank_mask:0xf
	v_add_f64 v[22:23], v[26:27], v[22:23]
	v_add_f64 v[24:25], v[24:25], v[28:29]
	s_nop 0
	v_mov_b32_dpp v26, v22 row_shr:2 row_mask:0xf bank_mask:0xf
	v_mov_b32_dpp v27, v23 row_shr:2 row_mask:0xf bank_mask:0xf
	v_mov_b32_dpp v28, v24 row_shr:2 row_mask:0xf bank_mask:0xf
	v_mov_b32_dpp v29, v25 row_shr:2 row_mask:0xf bank_mask:0xf
	v_add_f64 v[22:23], v[22:23], v[26:27]
	v_add_f64 v[24:25], v[24:25], v[28:29]
	s_nop 0
	;; [unrolled: 7-line block ×4, first 2 shown]
	v_mov_b32_dpp v26, v22 row_bcast:15 row_mask:0xa bank_mask:0xf
	v_mov_b32_dpp v27, v23 row_bcast:15 row_mask:0xa bank_mask:0xf
	;; [unrolled: 1-line block ×4, first 2 shown]
	s_and_saveexec_b64 s[24:25], s[0:1]
	s_cbranch_execz .LBB43_13
; %bb.31:                               ;   in Loop: Header=BB43_15 Depth=1
	v_mul_f64 v[38:39], v[6:7], v[6:7]
	v_fmac_f64_e32 v[38:39], v[4:5], v[4:5]
	v_div_scale_f64 v[40:41], s[26:27], v[38:39], v[38:39], 1.0
	v_rcp_f64_e32 v[42:43], v[40:41]
	v_div_scale_f64 v[44:45], vcc, 1.0, v[38:39], 1.0
	v_add_f64 v[22:23], v[22:23], v[26:27]
	v_fma_f64 v[46:47], -v[40:41], v[42:43], 1.0
	v_fmac_f64_e32 v[42:43], v[42:43], v[46:47]
	v_fma_f64 v[46:47], -v[40:41], v[42:43], 1.0
	v_fmac_f64_e32 v[42:43], v[42:43], v[46:47]
	v_mul_f64 v[46:47], v[44:45], v[42:43]
	v_fma_f64 v[40:41], -v[40:41], v[46:47], v[44:45]
	v_div_fmas_f64 v[40:41], v[40:41], v[42:43], v[46:47]
	v_div_fixup_f64 v[38:39], v[40:41], v[38:39], 1.0
	v_fma_f64 v[40:41], 0, v[6:7], v[4:5]
	v_fma_f64 v[4:5], v[4:5], 0, -v[6:7]
	v_add_f64 v[6:7], v[24:25], v[28:29]
	v_mul_f64 v[4:5], v[4:5], v[38:39]
	v_add_f64 v[22:23], v[0:1], -v[22:23]
	v_add_f64 v[6:7], v[2:3], -v[6:7]
	v_mul_f64 v[40:41], v[40:41], v[38:39]
	v_mul_f64 v[0:1], v[4:5], -v[6:7]
	v_mul_f64 v[2:3], v[4:5], v[22:23]
	v_fmac_f64_e32 v[0:1], v[22:23], v[40:41]
	v_fmac_f64_e32 v[2:3], v[6:7], v[40:41]
	;; [unrolled: 1-line block ×5, first 2 shown]
	v_fma_f64 v[16:17], v[0:1], -v[2:3], v[16:17]
	global_store_dwordx4 v[20:21], v[0:3], off
	s_branch .LBB43_13
.LBB43_32:
	s_or_b64 exec, exec, s[10:11]
.LBB43_33:
	s_or_b64 exec, exec, s[6:7]
	v_cmp_eq_u32_e64 s[0:1], 31, v13
	v_cmp_lt_i32_e32 vcc, -1, v12
	s_and_b64 s[2:3], s[0:1], vcc
	s_and_saveexec_b64 s[6:7], s[2:3]
	s_cbranch_execz .LBB43_50
; %bb.34:
	v_mov_b32_e32 v13, 0
	v_lshlrev_b64 v[0:1], 4, v[12:13]
	v_mov_b32_e32 v2, s21
	v_add_co_u32_e32 v0, vcc, s20, v0
	v_addc_co_u32_e32 v1, vcc, v2, v1, vcc
	global_load_dwordx4 v[2:5], v[0:1], off
	s_load_dwordx2 s[2:3], s[4:5], 0x48
	s_waitcnt lgkmcnt(0)
	v_mul_f64 v[12:13], s[2:3], s[2:3]
	s_waitcnt vmcnt(0)
	v_add_f64 v[2:3], v[2:3], -v[18:19]
	v_add_f64 v[6:7], v[4:5], -v[16:17]
	v_cmp_le_f64_e32 vcc, v[2:3], v[12:13]
	v_cmp_eq_f64_e64 s[2:3], 0, v[6:7]
	s_and_b64 s[4:5], vcc, s[2:3]
	v_add_u32_e32 v12, s33, v10
	s_and_saveexec_b64 s[2:3], s[4:5]
	s_cbranch_execz .LBB43_39
; %bb.35:
	s_mov_b64 s[4:5], exec
	s_brev_b32 s10, -2
.LBB43_36:                              ; =>This Inner Loop Header: Depth=1
	s_ff1_i32_b64 s11, s[4:5]
	v_readlane_b32 s18, v12, s11
	s_lshl_b64 s[16:17], 1, s11
	s_min_i32 s10, s10, s18
	s_andn2_b64 s[4:5], s[4:5], s[16:17]
	s_cmp_lg_u64 s[4:5], 0
	s_cbranch_scc1 .LBB43_36
; %bb.37:
	v_mbcnt_lo_u32_b32 v4, exec_lo, 0
	v_mbcnt_hi_u32_b32 v4, exec_hi, v4
	v_cmp_eq_u32_e32 vcc, 0, v4
	s_and_saveexec_b64 s[4:5], vcc
	s_xor_b64 s[4:5], exec, s[4:5]
	s_cbranch_execz .LBB43_39
; %bb.38:
	v_mov_b32_e32 v4, 0
	v_mov_b32_e32 v5, s10
	global_atomic_smin v4, v5, s[14:15]
.LBB43_39:
	s_or_b64 exec, exec, s[2:3]
	v_xor_b32_e32 v4, 0x80000000, v3
	v_cmp_gt_f64_e32 vcc, 0, v[2:3]
	v_cndmask_b32_e32 v3, v3, v4, vcc
	v_cndmask_b32_e32 v2, v2, v2, vcc
	v_xor_b32_e32 v4, 0x80000000, v7
	v_cmp_gt_f64_e32 vcc, 0, v[6:7]
	v_cndmask_b32_e32 v5, v7, v4, vcc
	v_cndmask_b32_e32 v4, v6, v6, vcc
	v_cmp_ngt_f64_e32 vcc, v[2:3], v[4:5]
                                        ; implicit-def: $vgpr10_vgpr11
	s_and_saveexec_b64 s[2:3], vcc
	s_xor_b64 s[2:3], exec, s[2:3]
	s_cbranch_execz .LBB43_43
; %bb.40:
	v_cmp_neq_f64_e32 vcc, 0, v[6:7]
	v_pk_mov_b32 v[10:11], 0, 0
	s_and_saveexec_b64 s[4:5], vcc
	s_cbranch_execz .LBB43_42
; %bb.41:
	v_div_scale_f64 v[6:7], s[10:11], v[4:5], v[4:5], v[2:3]
	v_rcp_f64_e32 v[10:11], v[6:7]
	v_div_scale_f64 v[14:15], vcc, v[2:3], v[4:5], v[2:3]
	s_mov_b32 s10, 0
	v_fma_f64 v[16:17], -v[6:7], v[10:11], 1.0
	v_fmac_f64_e32 v[10:11], v[10:11], v[16:17]
	v_fma_f64 v[16:17], -v[6:7], v[10:11], 1.0
	v_fmac_f64_e32 v[10:11], v[10:11], v[16:17]
	v_mul_f64 v[16:17], v[14:15], v[10:11]
	v_fma_f64 v[6:7], -v[6:7], v[16:17], v[14:15]
	v_div_fmas_f64 v[6:7], v[6:7], v[10:11], v[16:17]
	v_div_fixup_f64 v[2:3], v[6:7], v[4:5], v[2:3]
	v_fma_f64 v[2:3], v[2:3], v[2:3], 1.0
	s_brev_b32 s11, 8
	v_cmp_gt_f64_e32 vcc, s[10:11], v[2:3]
	v_cndmask_b32_e64 v6, 0, 1, vcc
	v_lshlrev_b32_e32 v6, 8, v6
	v_ldexp_f64 v[2:3], v[2:3], v6
	v_rsq_f64_e32 v[6:7], v[2:3]
	v_mul_f64 v[10:11], v[2:3], v[6:7]
	v_mul_f64 v[6:7], v[6:7], 0.5
	v_fma_f64 v[14:15], -v[6:7], v[10:11], 0.5
	v_fmac_f64_e32 v[10:11], v[10:11], v[14:15]
	v_fma_f64 v[16:17], -v[10:11], v[10:11], v[2:3]
	v_fmac_f64_e32 v[6:7], v[6:7], v[14:15]
	v_fmac_f64_e32 v[10:11], v[16:17], v[6:7]
	v_fma_f64 v[14:15], -v[10:11], v[10:11], v[2:3]
	v_fmac_f64_e32 v[10:11], v[14:15], v[6:7]
	v_mov_b32_e32 v6, 0xffffff80
	v_cndmask_b32_e32 v6, 0, v6, vcc
	v_ldexp_f64 v[6:7], v[10:11], v6
	v_mov_b32_e32 v10, 0x260
	v_cmp_class_f64_e32 vcc, v[2:3], v10
	v_cndmask_b32_e32 v3, v7, v3, vcc
	v_cndmask_b32_e32 v2, v6, v2, vcc
	v_mul_f64 v[10:11], v[4:5], v[2:3]
.LBB43_42:
	s_or_b64 exec, exec, s[4:5]
                                        ; implicit-def: $vgpr2_vgpr3
                                        ; implicit-def: $vgpr4_vgpr5
.LBB43_43:
	s_andn2_saveexec_b64 s[2:3], s[2:3]
	s_cbranch_execz .LBB43_45
; %bb.44:
	v_div_scale_f64 v[6:7], s[4:5], v[2:3], v[2:3], v[4:5]
	v_rcp_f64_e32 v[10:11], v[6:7]
	v_div_scale_f64 v[14:15], vcc, v[4:5], v[2:3], v[4:5]
	s_mov_b32 s4, 0
	v_fma_f64 v[16:17], -v[6:7], v[10:11], 1.0
	v_fmac_f64_e32 v[10:11], v[10:11], v[16:17]
	v_fma_f64 v[16:17], -v[6:7], v[10:11], 1.0
	v_fmac_f64_e32 v[10:11], v[10:11], v[16:17]
	v_mul_f64 v[16:17], v[14:15], v[10:11]
	v_fma_f64 v[6:7], -v[6:7], v[16:17], v[14:15]
	v_div_fmas_f64 v[6:7], v[6:7], v[10:11], v[16:17]
	v_div_fixup_f64 v[4:5], v[6:7], v[2:3], v[4:5]
	v_fma_f64 v[4:5], v[4:5], v[4:5], 1.0
	s_brev_b32 s5, 8
	v_cmp_gt_f64_e32 vcc, s[4:5], v[4:5]
	v_cndmask_b32_e64 v6, 0, 1, vcc
	v_lshlrev_b32_e32 v6, 8, v6
	v_ldexp_f64 v[4:5], v[4:5], v6
	v_rsq_f64_e32 v[6:7], v[4:5]
	v_mul_f64 v[10:11], v[4:5], v[6:7]
	v_mul_f64 v[6:7], v[6:7], 0.5
	v_fma_f64 v[14:15], -v[6:7], v[10:11], 0.5
	v_fmac_f64_e32 v[10:11], v[10:11], v[14:15]
	v_fma_f64 v[16:17], -v[10:11], v[10:11], v[4:5]
	v_fmac_f64_e32 v[6:7], v[6:7], v[14:15]
	v_fmac_f64_e32 v[10:11], v[16:17], v[6:7]
	v_fma_f64 v[14:15], -v[10:11], v[10:11], v[4:5]
	v_fmac_f64_e32 v[10:11], v[14:15], v[6:7]
	v_mov_b32_e32 v6, 0xffffff80
	v_cndmask_b32_e32 v6, 0, v6, vcc
	v_ldexp_f64 v[6:7], v[10:11], v6
	v_mov_b32_e32 v10, 0x260
	v_cmp_class_f64_e32 vcc, v[4:5], v10
	v_cndmask_b32_e32 v5, v7, v5, vcc
	v_cndmask_b32_e32 v4, v6, v4, vcc
	v_mul_f64 v[10:11], v[2:3], v[4:5]
.LBB43_45:
	s_or_b64 exec, exec, s[2:3]
	s_mov_b32 s2, 0
	s_brev_b32 s3, 8
	v_cmp_gt_f64_e32 vcc, s[2:3], v[10:11]
	v_cndmask_b32_e64 v2, 0, 1, vcc
	v_lshlrev_b32_e32 v2, 8, v2
	v_ldexp_f64 v[2:3], v[10:11], v2
	v_rsq_f64_e32 v[4:5], v[2:3]
	v_mul_f64 v[6:7], v[2:3], v[4:5]
	v_mul_f64 v[4:5], v[4:5], 0.5
	v_fma_f64 v[10:11], -v[4:5], v[6:7], 0.5
	v_fmac_f64_e32 v[6:7], v[6:7], v[10:11]
	v_fma_f64 v[14:15], -v[6:7], v[6:7], v[2:3]
	v_fmac_f64_e32 v[4:5], v[4:5], v[10:11]
	v_fmac_f64_e32 v[6:7], v[14:15], v[4:5]
	v_fma_f64 v[10:11], -v[6:7], v[6:7], v[2:3]
	v_fmac_f64_e32 v[6:7], v[10:11], v[4:5]
	v_mov_b32_e32 v5, 0xffffff80
	v_cndmask_b32_e32 v5, 0, v5, vcc
	v_ldexp_f64 v[6:7], v[6:7], v5
	v_mov_b32_e32 v5, 0x260
	v_cmp_class_f64_e32 vcc, v[2:3], v5
	v_mov_b32_e32 v4, 0
	v_cndmask_b32_e32 v3, v7, v3, vcc
	v_cndmask_b32_e32 v2, v6, v2, vcc
	v_mov_b32_e32 v5, v4
	v_cmp_eq_f64_e32 vcc, 0, v[2:3]
	global_store_dwordx4 v[0:1], v[2:5], off
	s_and_b64 exec, exec, vcc
	s_cbranch_execz .LBB43_50
; %bb.46:
	s_mov_b64 s[2:3], exec
	s_brev_b32 s4, -2
.LBB43_47:                              ; =>This Inner Loop Header: Depth=1
	s_ff1_i32_b64 s5, s[2:3]
	v_readlane_b32 s14, v12, s5
	s_lshl_b64 s[10:11], 1, s5
	s_min_i32 s4, s4, s14
	s_andn2_b64 s[2:3], s[2:3], s[10:11]
	s_cmp_lg_u64 s[2:3], 0
	s_cbranch_scc1 .LBB43_47
; %bb.48:
	v_mbcnt_lo_u32_b32 v0, exec_lo, 0
	v_mbcnt_hi_u32_b32 v0, exec_hi, v0
	v_cmp_eq_u32_e32 vcc, 0, v0
	s_and_saveexec_b64 s[2:3], vcc
	s_xor_b64 s[2:3], exec, s[2:3]
	s_cbranch_execz .LBB43_50
; %bb.49:
	v_mov_b32_e32 v0, 0
	v_mov_b32_e32 v1, s4
	global_atomic_smin v0, v1, s[12:13]
.LBB43_50:
	s_or_b64 exec, exec, s[6:7]
	s_and_b64 exec, exec, s[0:1]
	s_cbranch_execz .LBB43_52
; %bb.51:
	v_mov_b32_e32 v1, s9
	v_add_co_u32_e32 v0, vcc, s8, v8
	v_addc_co_u32_e32 v1, vcc, v1, v9, vcc
	v_mov_b32_e32 v2, 1
	s_waitcnt vmcnt(0)
	global_store_dword v[0:1], v2, off
.LBB43_52:
	s_endpgm
	.section	.rodata,"a",@progbits
	.p2align	6, 0x0
	.amdhsa_kernel _ZN9rocsparseL18csric0_hash_kernelILj256ELj32ELj8E21rocsparse_complex_numIdEEEviPKiS4_PT2_S4_PiS4_S7_S7_d21rocsparse_index_base_
		.amdhsa_group_segment_fixed_size 16384
		.amdhsa_private_segment_fixed_size 0
		.amdhsa_kernarg_size 84
		.amdhsa_user_sgpr_count 6
		.amdhsa_user_sgpr_private_segment_buffer 1
		.amdhsa_user_sgpr_dispatch_ptr 0
		.amdhsa_user_sgpr_queue_ptr 0
		.amdhsa_user_sgpr_kernarg_segment_ptr 1
		.amdhsa_user_sgpr_dispatch_id 0
		.amdhsa_user_sgpr_flat_scratch_init 0
		.amdhsa_user_sgpr_kernarg_preload_length 0
		.amdhsa_user_sgpr_kernarg_preload_offset 0
		.amdhsa_user_sgpr_private_segment_size 0
		.amdhsa_uses_dynamic_stack 0
		.amdhsa_system_sgpr_private_segment_wavefront_offset 0
		.amdhsa_system_sgpr_workgroup_id_x 1
		.amdhsa_system_sgpr_workgroup_id_y 0
		.amdhsa_system_sgpr_workgroup_id_z 0
		.amdhsa_system_sgpr_workgroup_info 0
		.amdhsa_system_vgpr_workitem_id 0
		.amdhsa_next_free_vgpr 50
		.amdhsa_next_free_sgpr 44
		.amdhsa_accum_offset 52
		.amdhsa_reserve_vcc 1
		.amdhsa_reserve_flat_scratch 0
		.amdhsa_float_round_mode_32 0
		.amdhsa_float_round_mode_16_64 0
		.amdhsa_float_denorm_mode_32 3
		.amdhsa_float_denorm_mode_16_64 3
		.amdhsa_dx10_clamp 1
		.amdhsa_ieee_mode 1
		.amdhsa_fp16_overflow 0
		.amdhsa_tg_split 0
		.amdhsa_exception_fp_ieee_invalid_op 0
		.amdhsa_exception_fp_denorm_src 0
		.amdhsa_exception_fp_ieee_div_zero 0
		.amdhsa_exception_fp_ieee_overflow 0
		.amdhsa_exception_fp_ieee_underflow 0
		.amdhsa_exception_fp_ieee_inexact 0
		.amdhsa_exception_int_div_zero 0
	.end_amdhsa_kernel
	.section	.text._ZN9rocsparseL18csric0_hash_kernelILj256ELj32ELj8E21rocsparse_complex_numIdEEEviPKiS4_PT2_S4_PiS4_S7_S7_d21rocsparse_index_base_,"axG",@progbits,_ZN9rocsparseL18csric0_hash_kernelILj256ELj32ELj8E21rocsparse_complex_numIdEEEviPKiS4_PT2_S4_PiS4_S7_S7_d21rocsparse_index_base_,comdat
.Lfunc_end43:
	.size	_ZN9rocsparseL18csric0_hash_kernelILj256ELj32ELj8E21rocsparse_complex_numIdEEEviPKiS4_PT2_S4_PiS4_S7_S7_d21rocsparse_index_base_, .Lfunc_end43-_ZN9rocsparseL18csric0_hash_kernelILj256ELj32ELj8E21rocsparse_complex_numIdEEEviPKiS4_PT2_S4_PiS4_S7_S7_d21rocsparse_index_base_
                                        ; -- End function
	.section	.AMDGPU.csdata,"",@progbits
; Kernel info:
; codeLenInByte = 2828
; NumSgprs: 48
; NumVgprs: 50
; NumAgprs: 0
; TotalNumVgprs: 50
; ScratchSize: 0
; MemoryBound: 0
; FloatMode: 240
; IeeeMode: 1
; LDSByteSize: 16384 bytes/workgroup (compile time only)
; SGPRBlocks: 5
; VGPRBlocks: 6
; NumSGPRsForWavesPerEU: 48
; NumVGPRsForWavesPerEU: 50
; AccumOffset: 52
; Occupancy: 4
; WaveLimiterHint : 1
; COMPUTE_PGM_RSRC2:SCRATCH_EN: 0
; COMPUTE_PGM_RSRC2:USER_SGPR: 6
; COMPUTE_PGM_RSRC2:TRAP_HANDLER: 0
; COMPUTE_PGM_RSRC2:TGID_X_EN: 1
; COMPUTE_PGM_RSRC2:TGID_Y_EN: 0
; COMPUTE_PGM_RSRC2:TGID_Z_EN: 0
; COMPUTE_PGM_RSRC2:TIDIG_COMP_CNT: 0
; COMPUTE_PGM_RSRC3_GFX90A:ACCUM_OFFSET: 12
; COMPUTE_PGM_RSRC3_GFX90A:TG_SPLIT: 0
	.section	.text._ZN9rocsparseL18csric0_hash_kernelILj256ELj32ELj16E21rocsparse_complex_numIdEEEviPKiS4_PT2_S4_PiS4_S7_S7_d21rocsparse_index_base_,"axG",@progbits,_ZN9rocsparseL18csric0_hash_kernelILj256ELj32ELj16E21rocsparse_complex_numIdEEEviPKiS4_PT2_S4_PiS4_S7_S7_d21rocsparse_index_base_,comdat
	.globl	_ZN9rocsparseL18csric0_hash_kernelILj256ELj32ELj16E21rocsparse_complex_numIdEEEviPKiS4_PT2_S4_PiS4_S7_S7_d21rocsparse_index_base_ ; -- Begin function _ZN9rocsparseL18csric0_hash_kernelILj256ELj32ELj16E21rocsparse_complex_numIdEEEviPKiS4_PT2_S4_PiS4_S7_S7_d21rocsparse_index_base_
	.p2align	8
	.type	_ZN9rocsparseL18csric0_hash_kernelILj256ELj32ELj16E21rocsparse_complex_numIdEEEviPKiS4_PT2_S4_PiS4_S7_S7_d21rocsparse_index_base_,@function
_ZN9rocsparseL18csric0_hash_kernelILj256ELj32ELj16E21rocsparse_complex_numIdEEEviPKiS4_PT2_S4_PiS4_S7_S7_d21rocsparse_index_base_: ; @_ZN9rocsparseL18csric0_hash_kernelILj256ELj32ELj16E21rocsparse_complex_numIdEEEviPKiS4_PT2_S4_PiS4_S7_S7_d21rocsparse_index_base_
; %bb.0:
	s_load_dwordx8 s[16:23], s[4:5], 0x8
	s_load_dwordx8 s[8:15], s[4:5], 0x28
	v_and_b32_e32 v13, 31, v0
	v_lshrrev_b32_e32 v1, 5, v0
	v_lshlrev_b32_e32 v3, 11, v1
	v_lshlrev_b32_e32 v4, 2, v13
	s_movk_i32 s0, 0x4000
	v_or_b32_e32 v2, 0xffffffe0, v13
	v_or3_b32 v3, v3, v4, s0
	s_mov_b64 s[0:1], 0
	v_mov_b32_e32 v4, -1
	s_movk_i32 s2, 0x1df
.LBB44_1:                               ; =>This Inner Loop Header: Depth=1
	v_add_u32_e32 v2, 32, v2
	v_cmp_lt_u32_e32 vcc, s2, v2
	ds_write_b32 v3, v4
	s_or_b64 s[0:1], vcc, s[0:1]
	v_add_u32_e32 v3, 0x80, v3
	s_andn2_b64 exec, exec, s[0:1]
	s_cbranch_execnz .LBB44_1
; %bb.2:
	s_or_b64 exec, exec, s[0:1]
	s_load_dword s0, s[4:5], 0x0
	s_lshl_b32 s1, s6, 3
	s_and_b32 s1, s1, 0x7fffff8
	v_or_b32_e32 v1, s1, v1
	s_waitcnt lgkmcnt(0)
	v_cmp_gt_i32_e32 vcc, s0, v1
	s_and_saveexec_b64 s[0:1], vcc
	s_cbranch_execz .LBB44_54
; %bb.3:
	v_lshlrev_b32_e32 v1, 2, v1
	global_load_dword v10, v1, s[10:11]
	v_mov_b32_e32 v3, s17
	v_mov_b32_e32 v1, s23
	s_load_dword s33, s[4:5], 0x50
	v_lshlrev_b32_e32 v0, 6, v0
	s_waitcnt vmcnt(0)
	v_ashrrev_i32_e32 v11, 31, v10
	v_lshlrev_b64 v[8:9], 2, v[10:11]
	v_add_co_u32_e32 v2, vcc, s16, v8
	v_addc_co_u32_e32 v3, vcc, v3, v9, vcc
	global_load_dwordx2 v[2:3], v[2:3], off
	v_add_co_u32_e32 v4, vcc, s22, v8
	v_addc_co_u32_e32 v5, vcc, v1, v9, vcc
	global_load_dword v12, v[4:5], off
	v_and_b32_e32 v11, 0x3800, v0
	v_or_b32_e32 v30, 0x4000, v11
	s_waitcnt vmcnt(1) lgkmcnt(0)
	v_subrev_u32_e32 v14, s33, v2
	v_subrev_u32_e32 v2, s33, v3
	v_add_u32_e32 v0, v14, v13
	v_cmp_lt_i32_e32 vcc, v0, v2
	s_and_saveexec_b64 s[0:1], vcc
	s_cbranch_execz .LBB44_13
; %bb.4:
	s_mov_b64 s[2:3], 0
	v_mov_b32_e32 v3, s19
	s_movk_i32 s34, 0x67
	v_mov_b32_e32 v4, -1
	s_branch .LBB44_6
.LBB44_5:                               ;   in Loop: Header=BB44_6 Depth=1
	s_or_b64 exec, exec, s[6:7]
	v_add_u32_e32 v0, 32, v0
	v_cmp_ge_i32_e32 vcc, v0, v2
	s_or_b64 s[2:3], vcc, s[2:3]
	s_andn2_b64 exec, exec, s[2:3]
	s_cbranch_execz .LBB44_13
.LBB44_6:                               ; =>This Loop Header: Depth=1
                                        ;     Child Loop BB44_9 Depth 2
	v_ashrrev_i32_e32 v1, 31, v0
	v_lshlrev_b64 v[6:7], 2, v[0:1]
	v_add_co_u32_e32 v6, vcc, s18, v6
	v_addc_co_u32_e32 v7, vcc, v3, v7, vcc
	global_load_dword v1, v[6:7], off
	s_waitcnt vmcnt(0)
	v_mul_lo_u32 v5, v1, s34
	v_and_b32_e32 v5, 0x1ff, v5
	v_lshl_add_u32 v6, v5, 2, v30
	ds_read_b32 v7, v6
	s_waitcnt lgkmcnt(0)
	v_cmp_ne_u32_e32 vcc, v7, v1
	s_and_saveexec_b64 s[6:7], vcc
	s_cbranch_execz .LBB44_5
; %bb.7:                                ;   in Loop: Header=BB44_6 Depth=1
	s_mov_b64 s[10:11], 0
                                        ; implicit-def: $sgpr24_sgpr25
                                        ; implicit-def: $sgpr28_sgpr29
                                        ; implicit-def: $sgpr26_sgpr27
	s_branch .LBB44_9
.LBB44_8:                               ;   in Loop: Header=BB44_9 Depth=2
	s_or_b64 exec, exec, s[30:31]
	s_and_b64 s[30:31], exec, s[28:29]
	s_or_b64 s[10:11], s[30:31], s[10:11]
	s_andn2_b64 s[24:25], s[24:25], exec
	s_and_b64 s[30:31], s[26:27], exec
	s_or_b64 s[24:25], s[24:25], s[30:31]
	s_andn2_b64 exec, exec, s[10:11]
	s_cbranch_execz .LBB44_11
.LBB44_9:                               ;   Parent Loop BB44_6 Depth=1
                                        ; =>  This Inner Loop Header: Depth=2
	ds_cmpst_rtn_b32 v6, v6, v4, v1
	v_mov_b32_e32 v7, v5
	s_or_b64 s[26:27], s[26:27], exec
	s_or_b64 s[28:29], s[28:29], exec
                                        ; implicit-def: $vgpr5
	s_waitcnt lgkmcnt(0)
	v_cmp_ne_u32_e32 vcc, -1, v6
                                        ; implicit-def: $vgpr6
	s_and_saveexec_b64 s[30:31], vcc
	s_cbranch_execz .LBB44_8
; %bb.10:                               ;   in Loop: Header=BB44_9 Depth=2
	v_add_u32_e32 v5, 1, v7
	v_and_b32_e32 v5, 0x1ff, v5
	v_lshl_add_u32 v6, v5, 2, v30
	ds_read_b32 v15, v6
	s_andn2_b64 s[28:29], s[28:29], exec
	s_andn2_b64 s[26:27], s[26:27], exec
	s_waitcnt lgkmcnt(0)
	v_cmp_eq_u32_e32 vcc, v15, v1
	s_and_b64 s[36:37], vcc, exec
	s_or_b64 s[28:29], s[28:29], s[36:37]
	s_branch .LBB44_8
.LBB44_11:                              ;   in Loop: Header=BB44_6 Depth=1
	s_or_b64 exec, exec, s[10:11]
	s_and_saveexec_b64 s[10:11], s[24:25]
	s_xor_b64 s[10:11], exec, s[10:11]
	s_cbranch_execz .LBB44_5
; %bb.12:                               ;   in Loop: Header=BB44_6 Depth=1
	v_lshl_add_u32 v1, v7, 2, v11
	ds_write_b32 v1, v0
	s_branch .LBB44_5
.LBB44_13:
	s_or_b64 exec, exec, s[0:1]
	v_pk_mov_b32 v[16:17], 0, 0
	s_waitcnt vmcnt(0)
	v_cmp_lt_i32_e32 vcc, v14, v12
	s_mov_b64 s[10:11], 0
	v_pk_mov_b32 v[18:19], v[16:17], v[16:17] op_sel:[0,1]
	s_waitcnt lgkmcnt(0)
	s_and_saveexec_b64 s[6:7], vcc
	s_cbranch_execz .LBB44_35
; %bb.14:
	v_pk_mov_b32 v[16:17], 0, 0
	v_add_u32_e32 v31, -1, v12
	v_subrev_u32_e32 v32, s33, v13
	v_cmp_eq_u32_e64 s[0:1], 31, v13
	v_mov_b32_e32 v33, s19
	v_mov_b32_e32 v34, s21
	;; [unrolled: 1-line block ×5, first 2 shown]
	s_movk_i32 s17, 0x67
	v_pk_mov_b32 v[18:19], v[16:17], v[16:17] op_sel:[0,1]
	s_branch .LBB44_17
.LBB44_15:                              ;   in Loop: Header=BB44_17 Depth=1
	s_or_b64 exec, exec, s[24:25]
	v_add_u32_e32 v14, 1, v14
	v_cmp_ge_i32_e32 vcc, v14, v12
	s_orn2_b64 s[24:25], vcc, exec
.LBB44_16:                              ;   in Loop: Header=BB44_17 Depth=1
	s_or_b64 exec, exec, s[2:3]
	s_and_b64 s[2:3], exec, s[24:25]
	s_or_b64 s[10:11], s[2:3], s[10:11]
	s_andn2_b64 exec, exec, s[10:11]
	s_cbranch_execz .LBB44_34
.LBB44_17:                              ; =>This Loop Header: Depth=1
                                        ;     Child Loop BB44_18 Depth 2
                                        ;     Child Loop BB44_24 Depth 2
                                        ;       Child Loop BB44_27 Depth 3
	v_ashrrev_i32_e32 v15, 31, v14
	v_lshlrev_b64 v[0:1], 2, v[14:15]
	v_add_co_u32_e32 v0, vcc, s18, v0
	v_addc_co_u32_e32 v1, vcc, v33, v1, vcc
	global_load_dword v4, v[0:1], off
	v_lshlrev_b64 v[0:1], 4, v[14:15]
	v_add_co_u32_e32 v20, vcc, s20, v0
	v_addc_co_u32_e32 v21, vcc, v34, v1, vcc
	global_load_dwordx4 v[0:3], v[20:21], off
	s_mov_b64 s[2:3], 0
	s_waitcnt vmcnt(1)
	v_subrev_u32_e32 v4, s33, v4
	v_ashrrev_i32_e32 v5, 31, v4
	v_lshlrev_b64 v[4:5], 2, v[4:5]
	v_add_co_u32_e32 v22, vcc, s16, v4
	v_addc_co_u32_e32 v23, vcc, v35, v5, vcc
	v_add_co_u32_e32 v24, vcc, s22, v4
	v_addc_co_u32_e32 v25, vcc, v36, v5, vcc
	global_load_dword v15, v[22:23], off
	global_load_dword v6, v[24:25], off
	v_add_co_u32_e32 v4, vcc, s8, v4
	v_addc_co_u32_e32 v5, vcc, v37, v5, vcc
.LBB44_18:                              ;   Parent Loop BB44_17 Depth=1
                                        ; =>  This Inner Loop Header: Depth=2
	global_load_dword v7, v[4:5], off glc
	s_waitcnt vmcnt(0)
	v_cmp_ne_u32_e32 vcc, 0, v7
	s_or_b64 s[2:3], vcc, s[2:3]
	s_andn2_b64 exec, exec, s[2:3]
	s_cbranch_execnz .LBB44_18
; %bb.19:                               ;   in Loop: Header=BB44_17 Depth=1
	s_or_b64 exec, exec, s[2:3]
	v_cmp_eq_u32_e32 vcc, -1, v6
	v_cndmask_b32_e32 v22, v6, v31, vcc
	v_ashrrev_i32_e32 v23, 31, v22
	v_lshlrev_b64 v[4:5], 4, v[22:23]
	v_add_co_u32_e32 v4, vcc, s20, v4
	v_addc_co_u32_e32 v5, vcc, v34, v5, vcc
	buffer_wbinvl1_vol
	global_load_dwordx4 v[4:7], v[4:5], off
	s_mov_b64 s[24:25], -1
	s_waitcnt vmcnt(0)
	v_cmp_neq_f64_e32 vcc, 0, v[4:5]
	v_cmp_neq_f64_e64 s[2:3], 0, v[6:7]
	s_or_b64 s[26:27], vcc, s[2:3]
	s_and_saveexec_b64 s[2:3], s[26:27]
	s_cbranch_execz .LBB44_16
; %bb.20:                               ;   in Loop: Header=BB44_17 Depth=1
	v_add_u32_e32 v28, v32, v15
	v_pk_mov_b32 v[24:25], 0, 0
	v_cmp_lt_i32_e32 vcc, v28, v22
	v_pk_mov_b32 v[26:27], v[24:25], v[24:25] op_sel:[0,1]
	s_and_saveexec_b64 s[24:25], vcc
	s_cbranch_execz .LBB44_32
; %bb.21:                               ;   in Loop: Header=BB44_17 Depth=1
	v_pk_mov_b32 v[24:25], 0, 0
	s_mov_b64 s[26:27], 0
	v_pk_mov_b32 v[26:27], v[24:25], v[24:25] op_sel:[0,1]
	s_branch .LBB44_24
.LBB44_22:                              ;   in Loop: Header=BB44_24 Depth=2
	s_or_b64 exec, exec, s[30:31]
.LBB44_23:                              ;   in Loop: Header=BB44_24 Depth=2
	s_or_b64 exec, exec, s[28:29]
	v_add_u32_e32 v28, 32, v28
	v_cmp_ge_i32_e32 vcc, v28, v22
	s_or_b64 s[26:27], vcc, s[26:27]
	s_andn2_b64 exec, exec, s[26:27]
	s_cbranch_execz .LBB44_31
.LBB44_24:                              ;   Parent Loop BB44_17 Depth=1
                                        ; =>  This Loop Header: Depth=2
                                        ;       Child Loop BB44_27 Depth 3
	v_ashrrev_i32_e32 v29, 31, v28
	v_lshlrev_b64 v[38:39], 2, v[28:29]
	v_add_co_u32_e32 v38, vcc, s18, v38
	v_addc_co_u32_e32 v39, vcc, v33, v39, vcc
	global_load_dword v15, v[38:39], off
	s_waitcnt vmcnt(0)
	v_mul_lo_u32 v23, v15, s17
	v_and_b32_e32 v39, 0x1ff, v23
	v_lshl_add_u32 v23, v39, 2, v30
	ds_read_b32 v38, v23
	s_waitcnt lgkmcnt(0)
	v_cmp_ne_u32_e32 vcc, -1, v38
	s_and_saveexec_b64 s[28:29], vcc
	s_cbranch_execz .LBB44_23
; %bb.25:                               ;   in Loop: Header=BB44_24 Depth=2
	s_mov_b64 s[34:35], 0
                                        ; implicit-def: $sgpr30_sgpr31
                                        ; implicit-def: $sgpr38_sgpr39
                                        ; implicit-def: $sgpr36_sgpr37
	s_branch .LBB44_27
.LBB44_26:                              ;   in Loop: Header=BB44_27 Depth=3
	s_or_b64 exec, exec, s[40:41]
	s_and_b64 s[40:41], exec, s[38:39]
	s_or_b64 s[34:35], s[40:41], s[34:35]
	s_andn2_b64 s[30:31], s[30:31], exec
	s_and_b64 s[40:41], s[36:37], exec
	s_or_b64 s[30:31], s[30:31], s[40:41]
	s_andn2_b64 exec, exec, s[34:35]
	s_cbranch_execz .LBB44_29
.LBB44_27:                              ;   Parent Loop BB44_17 Depth=1
                                        ;     Parent Loop BB44_24 Depth=2
                                        ; =>    This Inner Loop Header: Depth=3
	v_mov_b32_e32 v23, v39
	v_cmp_ne_u32_e32 vcc, v38, v15
	s_or_b64 s[36:37], s[36:37], exec
	s_or_b64 s[38:39], s[38:39], exec
                                        ; implicit-def: $vgpr39
                                        ; implicit-def: $vgpr38
	s_and_saveexec_b64 s[40:41], vcc
	s_cbranch_execz .LBB44_26
; %bb.28:                               ;   in Loop: Header=BB44_27 Depth=3
	v_add_u32_e32 v38, 1, v23
	v_and_b32_e32 v39, 0x1ff, v38
	v_lshl_add_u32 v38, v39, 2, v30
	ds_read_b32 v38, v38
	s_andn2_b64 s[38:39], s[38:39], exec
	s_andn2_b64 s[36:37], s[36:37], exec
	s_waitcnt lgkmcnt(0)
	v_cmp_eq_u32_e32 vcc, -1, v38
	s_and_b64 s[42:43], vcc, exec
	s_or_b64 s[38:39], s[38:39], s[42:43]
	s_branch .LBB44_26
.LBB44_29:                              ;   in Loop: Header=BB44_24 Depth=2
	s_or_b64 exec, exec, s[34:35]
	s_and_saveexec_b64 s[34:35], s[30:31]
	s_xor_b64 s[30:31], exec, s[34:35]
	s_cbranch_execz .LBB44_22
; %bb.30:                               ;   in Loop: Header=BB44_24 Depth=2
	v_lshl_add_u32 v15, v23, 2, v11
	ds_read_b32 v38, v15
	v_lshlrev_b64 v[40:41], 4, v[28:29]
	v_add_co_u32_e32 v46, vcc, s20, v40
	v_addc_co_u32_e32 v47, vcc, v34, v41, vcc
	s_waitcnt lgkmcnt(0)
	v_ashrrev_i32_e32 v39, 31, v38
	v_lshlrev_b64 v[38:39], 4, v[38:39]
	v_add_co_u32_e32 v48, vcc, s20, v38
	v_addc_co_u32_e32 v49, vcc, v34, v39, vcc
	global_load_dwordx4 v[38:41], v[46:47], off
	global_load_dwordx4 v[42:45], v[48:49], off
	s_waitcnt vmcnt(0)
	v_fmac_f64_e32 v[26:27], v[38:39], v[42:43]
	v_fmac_f64_e32 v[24:25], v[40:41], v[42:43]
	;; [unrolled: 1-line block ×3, first 2 shown]
	v_fma_f64 v[24:25], v[38:39], -v[44:45], v[24:25]
	s_branch .LBB44_22
.LBB44_31:                              ;   in Loop: Header=BB44_17 Depth=1
	s_or_b64 exec, exec, s[26:27]
.LBB44_32:                              ;   in Loop: Header=BB44_17 Depth=1
	s_or_b64 exec, exec, s[24:25]
	v_mov_b32_dpp v22, v26 row_shr:1 row_mask:0xf bank_mask:0xf
	v_mov_b32_dpp v23, v27 row_shr:1 row_mask:0xf bank_mask:0xf
	v_mov_b32_dpp v28, v24 row_shr:1 row_mask:0xf bank_mask:0xf
	v_mov_b32_dpp v29, v25 row_shr:1 row_mask:0xf bank_mask:0xf
	v_add_f64 v[22:23], v[26:27], v[22:23]
	v_add_f64 v[24:25], v[24:25], v[28:29]
	s_nop 0
	v_mov_b32_dpp v26, v22 row_shr:2 row_mask:0xf bank_mask:0xf
	v_mov_b32_dpp v27, v23 row_shr:2 row_mask:0xf bank_mask:0xf
	v_mov_b32_dpp v28, v24 row_shr:2 row_mask:0xf bank_mask:0xf
	v_mov_b32_dpp v29, v25 row_shr:2 row_mask:0xf bank_mask:0xf
	v_add_f64 v[22:23], v[22:23], v[26:27]
	v_add_f64 v[24:25], v[24:25], v[28:29]
	s_nop 0
	;; [unrolled: 7-line block ×4, first 2 shown]
	v_mov_b32_dpp v26, v22 row_bcast:15 row_mask:0xa bank_mask:0xf
	v_mov_b32_dpp v27, v23 row_bcast:15 row_mask:0xa bank_mask:0xf
	;; [unrolled: 1-line block ×4, first 2 shown]
	s_and_saveexec_b64 s[24:25], s[0:1]
	s_cbranch_execz .LBB44_15
; %bb.33:                               ;   in Loop: Header=BB44_17 Depth=1
	v_mul_f64 v[38:39], v[6:7], v[6:7]
	v_fmac_f64_e32 v[38:39], v[4:5], v[4:5]
	v_div_scale_f64 v[40:41], s[26:27], v[38:39], v[38:39], 1.0
	v_rcp_f64_e32 v[42:43], v[40:41]
	v_div_scale_f64 v[44:45], vcc, 1.0, v[38:39], 1.0
	v_add_f64 v[22:23], v[22:23], v[26:27]
	v_fma_f64 v[46:47], -v[40:41], v[42:43], 1.0
	v_fmac_f64_e32 v[42:43], v[42:43], v[46:47]
	v_fma_f64 v[46:47], -v[40:41], v[42:43], 1.0
	v_fmac_f64_e32 v[42:43], v[42:43], v[46:47]
	v_mul_f64 v[46:47], v[44:45], v[42:43]
	v_fma_f64 v[40:41], -v[40:41], v[46:47], v[44:45]
	v_div_fmas_f64 v[40:41], v[40:41], v[42:43], v[46:47]
	v_div_fixup_f64 v[38:39], v[40:41], v[38:39], 1.0
	v_fma_f64 v[40:41], 0, v[6:7], v[4:5]
	v_fma_f64 v[4:5], v[4:5], 0, -v[6:7]
	v_add_f64 v[6:7], v[24:25], v[28:29]
	v_mul_f64 v[4:5], v[4:5], v[38:39]
	v_add_f64 v[22:23], v[0:1], -v[22:23]
	v_add_f64 v[6:7], v[2:3], -v[6:7]
	v_mul_f64 v[40:41], v[40:41], v[38:39]
	v_mul_f64 v[0:1], v[4:5], -v[6:7]
	v_mul_f64 v[2:3], v[4:5], v[22:23]
	v_fmac_f64_e32 v[0:1], v[22:23], v[40:41]
	v_fmac_f64_e32 v[2:3], v[6:7], v[40:41]
	;; [unrolled: 1-line block ×5, first 2 shown]
	v_fma_f64 v[16:17], v[0:1], -v[2:3], v[16:17]
	global_store_dwordx4 v[20:21], v[0:3], off
	s_branch .LBB44_15
.LBB44_34:
	s_or_b64 exec, exec, s[10:11]
.LBB44_35:
	s_or_b64 exec, exec, s[6:7]
	v_cmp_eq_u32_e64 s[0:1], 31, v13
	v_cmp_lt_i32_e32 vcc, -1, v12
	s_and_b64 s[2:3], s[0:1], vcc
	s_and_saveexec_b64 s[6:7], s[2:3]
	s_cbranch_execz .LBB44_52
; %bb.36:
	v_mov_b32_e32 v13, 0
	v_lshlrev_b64 v[0:1], 4, v[12:13]
	v_mov_b32_e32 v2, s21
	v_add_co_u32_e32 v0, vcc, s20, v0
	v_addc_co_u32_e32 v1, vcc, v2, v1, vcc
	global_load_dwordx4 v[2:5], v[0:1], off
	s_load_dwordx2 s[2:3], s[4:5], 0x48
	s_waitcnt lgkmcnt(0)
	v_mul_f64 v[12:13], s[2:3], s[2:3]
	s_waitcnt vmcnt(0)
	v_add_f64 v[2:3], v[2:3], -v[18:19]
	v_add_f64 v[6:7], v[4:5], -v[16:17]
	v_cmp_le_f64_e32 vcc, v[2:3], v[12:13]
	v_cmp_eq_f64_e64 s[2:3], 0, v[6:7]
	s_and_b64 s[4:5], vcc, s[2:3]
	v_add_u32_e32 v12, s33, v10
	s_and_saveexec_b64 s[2:3], s[4:5]
	s_cbranch_execz .LBB44_41
; %bb.37:
	s_mov_b64 s[4:5], exec
	s_brev_b32 s10, -2
.LBB44_38:                              ; =>This Inner Loop Header: Depth=1
	s_ff1_i32_b64 s11, s[4:5]
	v_readlane_b32 s18, v12, s11
	s_lshl_b64 s[16:17], 1, s11
	s_min_i32 s10, s10, s18
	s_andn2_b64 s[4:5], s[4:5], s[16:17]
	s_cmp_lg_u64 s[4:5], 0
	s_cbranch_scc1 .LBB44_38
; %bb.39:
	v_mbcnt_lo_u32_b32 v4, exec_lo, 0
	v_mbcnt_hi_u32_b32 v4, exec_hi, v4
	v_cmp_eq_u32_e32 vcc, 0, v4
	s_and_saveexec_b64 s[4:5], vcc
	s_xor_b64 s[4:5], exec, s[4:5]
	s_cbranch_execz .LBB44_41
; %bb.40:
	v_mov_b32_e32 v4, 0
	v_mov_b32_e32 v5, s10
	global_atomic_smin v4, v5, s[14:15]
.LBB44_41:
	s_or_b64 exec, exec, s[2:3]
	v_xor_b32_e32 v4, 0x80000000, v3
	v_cmp_gt_f64_e32 vcc, 0, v[2:3]
	v_cndmask_b32_e32 v3, v3, v4, vcc
	v_cndmask_b32_e32 v2, v2, v2, vcc
	v_xor_b32_e32 v4, 0x80000000, v7
	v_cmp_gt_f64_e32 vcc, 0, v[6:7]
	v_cndmask_b32_e32 v5, v7, v4, vcc
	v_cndmask_b32_e32 v4, v6, v6, vcc
	v_cmp_ngt_f64_e32 vcc, v[2:3], v[4:5]
                                        ; implicit-def: $vgpr10_vgpr11
	s_and_saveexec_b64 s[2:3], vcc
	s_xor_b64 s[2:3], exec, s[2:3]
	s_cbranch_execz .LBB44_45
; %bb.42:
	v_cmp_neq_f64_e32 vcc, 0, v[6:7]
	v_pk_mov_b32 v[10:11], 0, 0
	s_and_saveexec_b64 s[4:5], vcc
	s_cbranch_execz .LBB44_44
; %bb.43:
	v_div_scale_f64 v[6:7], s[10:11], v[4:5], v[4:5], v[2:3]
	v_rcp_f64_e32 v[10:11], v[6:7]
	v_div_scale_f64 v[14:15], vcc, v[2:3], v[4:5], v[2:3]
	s_mov_b32 s10, 0
	v_fma_f64 v[16:17], -v[6:7], v[10:11], 1.0
	v_fmac_f64_e32 v[10:11], v[10:11], v[16:17]
	v_fma_f64 v[16:17], -v[6:7], v[10:11], 1.0
	v_fmac_f64_e32 v[10:11], v[10:11], v[16:17]
	v_mul_f64 v[16:17], v[14:15], v[10:11]
	v_fma_f64 v[6:7], -v[6:7], v[16:17], v[14:15]
	v_div_fmas_f64 v[6:7], v[6:7], v[10:11], v[16:17]
	v_div_fixup_f64 v[2:3], v[6:7], v[4:5], v[2:3]
	v_fma_f64 v[2:3], v[2:3], v[2:3], 1.0
	s_brev_b32 s11, 8
	v_cmp_gt_f64_e32 vcc, s[10:11], v[2:3]
	v_cndmask_b32_e64 v6, 0, 1, vcc
	v_lshlrev_b32_e32 v6, 8, v6
	v_ldexp_f64 v[2:3], v[2:3], v6
	v_rsq_f64_e32 v[6:7], v[2:3]
	v_mul_f64 v[10:11], v[2:3], v[6:7]
	v_mul_f64 v[6:7], v[6:7], 0.5
	v_fma_f64 v[14:15], -v[6:7], v[10:11], 0.5
	v_fmac_f64_e32 v[10:11], v[10:11], v[14:15]
	v_fma_f64 v[16:17], -v[10:11], v[10:11], v[2:3]
	v_fmac_f64_e32 v[6:7], v[6:7], v[14:15]
	v_fmac_f64_e32 v[10:11], v[16:17], v[6:7]
	v_fma_f64 v[14:15], -v[10:11], v[10:11], v[2:3]
	v_fmac_f64_e32 v[10:11], v[14:15], v[6:7]
	v_mov_b32_e32 v6, 0xffffff80
	v_cndmask_b32_e32 v6, 0, v6, vcc
	v_ldexp_f64 v[6:7], v[10:11], v6
	v_mov_b32_e32 v10, 0x260
	v_cmp_class_f64_e32 vcc, v[2:3], v10
	v_cndmask_b32_e32 v3, v7, v3, vcc
	v_cndmask_b32_e32 v2, v6, v2, vcc
	v_mul_f64 v[10:11], v[4:5], v[2:3]
.LBB44_44:
	s_or_b64 exec, exec, s[4:5]
                                        ; implicit-def: $vgpr2_vgpr3
                                        ; implicit-def: $vgpr4_vgpr5
.LBB44_45:
	s_andn2_saveexec_b64 s[2:3], s[2:3]
	s_cbranch_execz .LBB44_47
; %bb.46:
	v_div_scale_f64 v[6:7], s[4:5], v[2:3], v[2:3], v[4:5]
	v_rcp_f64_e32 v[10:11], v[6:7]
	v_div_scale_f64 v[14:15], vcc, v[4:5], v[2:3], v[4:5]
	s_mov_b32 s4, 0
	v_fma_f64 v[16:17], -v[6:7], v[10:11], 1.0
	v_fmac_f64_e32 v[10:11], v[10:11], v[16:17]
	v_fma_f64 v[16:17], -v[6:7], v[10:11], 1.0
	v_fmac_f64_e32 v[10:11], v[10:11], v[16:17]
	v_mul_f64 v[16:17], v[14:15], v[10:11]
	v_fma_f64 v[6:7], -v[6:7], v[16:17], v[14:15]
	v_div_fmas_f64 v[6:7], v[6:7], v[10:11], v[16:17]
	v_div_fixup_f64 v[4:5], v[6:7], v[2:3], v[4:5]
	v_fma_f64 v[4:5], v[4:5], v[4:5], 1.0
	s_brev_b32 s5, 8
	v_cmp_gt_f64_e32 vcc, s[4:5], v[4:5]
	v_cndmask_b32_e64 v6, 0, 1, vcc
	v_lshlrev_b32_e32 v6, 8, v6
	v_ldexp_f64 v[4:5], v[4:5], v6
	v_rsq_f64_e32 v[6:7], v[4:5]
	v_mul_f64 v[10:11], v[4:5], v[6:7]
	v_mul_f64 v[6:7], v[6:7], 0.5
	v_fma_f64 v[14:15], -v[6:7], v[10:11], 0.5
	v_fmac_f64_e32 v[10:11], v[10:11], v[14:15]
	v_fma_f64 v[16:17], -v[10:11], v[10:11], v[4:5]
	v_fmac_f64_e32 v[6:7], v[6:7], v[14:15]
	v_fmac_f64_e32 v[10:11], v[16:17], v[6:7]
	v_fma_f64 v[14:15], -v[10:11], v[10:11], v[4:5]
	v_fmac_f64_e32 v[10:11], v[14:15], v[6:7]
	v_mov_b32_e32 v6, 0xffffff80
	v_cndmask_b32_e32 v6, 0, v6, vcc
	v_ldexp_f64 v[6:7], v[10:11], v6
	v_mov_b32_e32 v10, 0x260
	v_cmp_class_f64_e32 vcc, v[4:5], v10
	v_cndmask_b32_e32 v5, v7, v5, vcc
	v_cndmask_b32_e32 v4, v6, v4, vcc
	v_mul_f64 v[10:11], v[2:3], v[4:5]
.LBB44_47:
	s_or_b64 exec, exec, s[2:3]
	s_mov_b32 s2, 0
	s_brev_b32 s3, 8
	v_cmp_gt_f64_e32 vcc, s[2:3], v[10:11]
	v_cndmask_b32_e64 v2, 0, 1, vcc
	v_lshlrev_b32_e32 v2, 8, v2
	v_ldexp_f64 v[2:3], v[10:11], v2
	v_rsq_f64_e32 v[4:5], v[2:3]
	v_mul_f64 v[6:7], v[2:3], v[4:5]
	v_mul_f64 v[4:5], v[4:5], 0.5
	v_fma_f64 v[10:11], -v[4:5], v[6:7], 0.5
	v_fmac_f64_e32 v[6:7], v[6:7], v[10:11]
	v_fma_f64 v[14:15], -v[6:7], v[6:7], v[2:3]
	v_fmac_f64_e32 v[4:5], v[4:5], v[10:11]
	v_fmac_f64_e32 v[6:7], v[14:15], v[4:5]
	v_fma_f64 v[10:11], -v[6:7], v[6:7], v[2:3]
	v_fmac_f64_e32 v[6:7], v[10:11], v[4:5]
	v_mov_b32_e32 v5, 0xffffff80
	v_cndmask_b32_e32 v5, 0, v5, vcc
	v_ldexp_f64 v[6:7], v[6:7], v5
	v_mov_b32_e32 v5, 0x260
	v_cmp_class_f64_e32 vcc, v[2:3], v5
	v_mov_b32_e32 v4, 0
	v_cndmask_b32_e32 v3, v7, v3, vcc
	v_cndmask_b32_e32 v2, v6, v2, vcc
	v_mov_b32_e32 v5, v4
	v_cmp_eq_f64_e32 vcc, 0, v[2:3]
	global_store_dwordx4 v[0:1], v[2:5], off
	s_and_b64 exec, exec, vcc
	s_cbranch_execz .LBB44_52
; %bb.48:
	s_mov_b64 s[2:3], exec
	s_brev_b32 s4, -2
.LBB44_49:                              ; =>This Inner Loop Header: Depth=1
	s_ff1_i32_b64 s5, s[2:3]
	v_readlane_b32 s14, v12, s5
	s_lshl_b64 s[10:11], 1, s5
	s_min_i32 s4, s4, s14
	s_andn2_b64 s[2:3], s[2:3], s[10:11]
	s_cmp_lg_u64 s[2:3], 0
	s_cbranch_scc1 .LBB44_49
; %bb.50:
	v_mbcnt_lo_u32_b32 v0, exec_lo, 0
	v_mbcnt_hi_u32_b32 v0, exec_hi, v0
	v_cmp_eq_u32_e32 vcc, 0, v0
	s_and_saveexec_b64 s[2:3], vcc
	s_xor_b64 s[2:3], exec, s[2:3]
	s_cbranch_execz .LBB44_52
; %bb.51:
	v_mov_b32_e32 v0, 0
	v_mov_b32_e32 v1, s4
	global_atomic_smin v0, v1, s[12:13]
.LBB44_52:
	s_or_b64 exec, exec, s[6:7]
	s_and_b64 exec, exec, s[0:1]
	s_cbranch_execz .LBB44_54
; %bb.53:
	v_mov_b32_e32 v1, s9
	v_add_co_u32_e32 v0, vcc, s8, v8
	v_addc_co_u32_e32 v1, vcc, v1, v9, vcc
	v_mov_b32_e32 v2, 1
	s_waitcnt vmcnt(0)
	global_store_dword v[0:1], v2, off
.LBB44_54:
	s_endpgm
	.section	.rodata,"a",@progbits
	.p2align	6, 0x0
	.amdhsa_kernel _ZN9rocsparseL18csric0_hash_kernelILj256ELj32ELj16E21rocsparse_complex_numIdEEEviPKiS4_PT2_S4_PiS4_S7_S7_d21rocsparse_index_base_
		.amdhsa_group_segment_fixed_size 32768
		.amdhsa_private_segment_fixed_size 0
		.amdhsa_kernarg_size 84
		.amdhsa_user_sgpr_count 6
		.amdhsa_user_sgpr_private_segment_buffer 1
		.amdhsa_user_sgpr_dispatch_ptr 0
		.amdhsa_user_sgpr_queue_ptr 0
		.amdhsa_user_sgpr_kernarg_segment_ptr 1
		.amdhsa_user_sgpr_dispatch_id 0
		.amdhsa_user_sgpr_flat_scratch_init 0
		.amdhsa_user_sgpr_kernarg_preload_length 0
		.amdhsa_user_sgpr_kernarg_preload_offset 0
		.amdhsa_user_sgpr_private_segment_size 0
		.amdhsa_uses_dynamic_stack 0
		.amdhsa_system_sgpr_private_segment_wavefront_offset 0
		.amdhsa_system_sgpr_workgroup_id_x 1
		.amdhsa_system_sgpr_workgroup_id_y 0
		.amdhsa_system_sgpr_workgroup_id_z 0
		.amdhsa_system_sgpr_workgroup_info 0
		.amdhsa_system_vgpr_workitem_id 0
		.amdhsa_next_free_vgpr 50
		.amdhsa_next_free_sgpr 44
		.amdhsa_accum_offset 52
		.amdhsa_reserve_vcc 1
		.amdhsa_reserve_flat_scratch 0
		.amdhsa_float_round_mode_32 0
		.amdhsa_float_round_mode_16_64 0
		.amdhsa_float_denorm_mode_32 3
		.amdhsa_float_denorm_mode_16_64 3
		.amdhsa_dx10_clamp 1
		.amdhsa_ieee_mode 1
		.amdhsa_fp16_overflow 0
		.amdhsa_tg_split 0
		.amdhsa_exception_fp_ieee_invalid_op 0
		.amdhsa_exception_fp_denorm_src 0
		.amdhsa_exception_fp_ieee_div_zero 0
		.amdhsa_exception_fp_ieee_overflow 0
		.amdhsa_exception_fp_ieee_underflow 0
		.amdhsa_exception_fp_ieee_inexact 0
		.amdhsa_exception_int_div_zero 0
	.end_amdhsa_kernel
	.section	.text._ZN9rocsparseL18csric0_hash_kernelILj256ELj32ELj16E21rocsparse_complex_numIdEEEviPKiS4_PT2_S4_PiS4_S7_S7_d21rocsparse_index_base_,"axG",@progbits,_ZN9rocsparseL18csric0_hash_kernelILj256ELj32ELj16E21rocsparse_complex_numIdEEEviPKiS4_PT2_S4_PiS4_S7_S7_d21rocsparse_index_base_,comdat
.Lfunc_end44:
	.size	_ZN9rocsparseL18csric0_hash_kernelILj256ELj32ELj16E21rocsparse_complex_numIdEEEviPKiS4_PT2_S4_PiS4_S7_S7_d21rocsparse_index_base_, .Lfunc_end44-_ZN9rocsparseL18csric0_hash_kernelILj256ELj32ELj16E21rocsparse_complex_numIdEEEviPKiS4_PT2_S4_PiS4_S7_S7_d21rocsparse_index_base_
                                        ; -- End function
	.section	.AMDGPU.csdata,"",@progbits
; Kernel info:
; codeLenInByte = 2844
; NumSgprs: 48
; NumVgprs: 50
; NumAgprs: 0
; TotalNumVgprs: 50
; ScratchSize: 0
; MemoryBound: 0
; FloatMode: 240
; IeeeMode: 1
; LDSByteSize: 32768 bytes/workgroup (compile time only)
; SGPRBlocks: 5
; VGPRBlocks: 6
; NumSGPRsForWavesPerEU: 48
; NumVGPRsForWavesPerEU: 50
; AccumOffset: 52
; Occupancy: 2
; WaveLimiterHint : 1
; COMPUTE_PGM_RSRC2:SCRATCH_EN: 0
; COMPUTE_PGM_RSRC2:USER_SGPR: 6
; COMPUTE_PGM_RSRC2:TRAP_HANDLER: 0
; COMPUTE_PGM_RSRC2:TGID_X_EN: 1
; COMPUTE_PGM_RSRC2:TGID_Y_EN: 0
; COMPUTE_PGM_RSRC2:TGID_Z_EN: 0
; COMPUTE_PGM_RSRC2:TIDIG_COMP_CNT: 0
; COMPUTE_PGM_RSRC3_GFX90A:ACCUM_OFFSET: 12
; COMPUTE_PGM_RSRC3_GFX90A:TG_SPLIT: 0
	.section	.text._ZN9rocsparseL23csric0_binsearch_kernelILj256ELj32ELb0E21rocsparse_complex_numIdEEEviPKiS4_PT2_S4_PiS4_S7_S7_d21rocsparse_index_base_,"axG",@progbits,_ZN9rocsparseL23csric0_binsearch_kernelILj256ELj32ELb0E21rocsparse_complex_numIdEEEviPKiS4_PT2_S4_PiS4_S7_S7_d21rocsparse_index_base_,comdat
	.globl	_ZN9rocsparseL23csric0_binsearch_kernelILj256ELj32ELb0E21rocsparse_complex_numIdEEEviPKiS4_PT2_S4_PiS4_S7_S7_d21rocsparse_index_base_ ; -- Begin function _ZN9rocsparseL23csric0_binsearch_kernelILj256ELj32ELb0E21rocsparse_complex_numIdEEEviPKiS4_PT2_S4_PiS4_S7_S7_d21rocsparse_index_base_
	.p2align	8
	.type	_ZN9rocsparseL23csric0_binsearch_kernelILj256ELj32ELb0E21rocsparse_complex_numIdEEEviPKiS4_PT2_S4_PiS4_S7_S7_d21rocsparse_index_base_,@function
_ZN9rocsparseL23csric0_binsearch_kernelILj256ELj32ELb0E21rocsparse_complex_numIdEEEviPKiS4_PT2_S4_PiS4_S7_S7_d21rocsparse_index_base_: ; @_ZN9rocsparseL23csric0_binsearch_kernelILj256ELj32ELb0E21rocsparse_complex_numIdEEEviPKiS4_PT2_S4_PiS4_S7_S7_d21rocsparse_index_base_
; %bb.0:
	s_load_dword s0, s[4:5], 0x0
	s_lshl_b32 s1, s6, 3
	v_lshrrev_b32_e32 v1, 5, v0
	s_and_b32 s1, s1, 0x7fffff8
	v_or_b32_e32 v1, s1, v1
	s_waitcnt lgkmcnt(0)
	v_cmp_gt_i32_e32 vcc, s0, v1
	s_and_saveexec_b64 s[0:1], vcc
	s_cbranch_execz .LBB45_53
; %bb.1:
	s_load_dwordx8 s[8:15], s[4:5], 0x18
	v_lshlrev_b32_e32 v1, 2, v1
	v_pk_mov_b32 v[14:15], 0, 0
	s_mov_b64 s[20:21], 0
	v_pk_mov_b32 v[16:17], v[14:15], v[14:15] op_sel:[0,1]
	s_waitcnt lgkmcnt(0)
	global_load_dword v10, v1, s[14:15]
	s_load_dwordx2 s[14:15], s[4:5], 0x8
	v_mov_b32_e32 v1, s11
	s_waitcnt lgkmcnt(0)
	v_mov_b32_e32 v3, s15
	s_waitcnt vmcnt(0)
	v_ashrrev_i32_e32 v11, 31, v10
	v_lshlrev_b64 v[8:9], 2, v[10:11]
	v_add_co_u32_e32 v4, vcc, s10, v8
	v_addc_co_u32_e32 v5, vcc, v1, v9, vcc
	v_add_co_u32_e32 v2, vcc, s14, v8
	v_addc_co_u32_e32 v3, vcc, v3, v9, vcc
	global_load_dword v1, v[2:3], off
	global_load_dword v12, v[4:5], off
	s_load_dword s33, s[4:5], 0x50
	s_load_dwordx4 s[16:19], s[4:5], 0x38
	s_load_dwordx2 s[6:7], s[4:5], 0x48
	v_and_b32_e32 v11, 31, v0
	s_waitcnt vmcnt(1) lgkmcnt(0)
	v_subrev_u32_e32 v13, s33, v1
	s_waitcnt vmcnt(0)
	v_cmp_lt_i32_e32 vcc, v13, v12
	s_and_saveexec_b64 s[22:23], vcc
	s_cbranch_execz .LBB45_34
; %bb.2:
	global_load_dword v0, v[2:3], off offset:4
	s_load_dwordx2 s[24:25], s[4:5], 0x10
	v_pk_mov_b32 v[14:15], 0, 0
	v_add_u32_e32 v32, -1, v12
	v_cmp_eq_u32_e64 s[0:1], 0, v11
	v_subrev_u32_e32 v33, s33, v11
	v_cmp_eq_u32_e64 s[2:3], 31, v11
	v_mov_b32_e32 v34, s9
	v_mov_b32_e32 v35, s15
	;; [unrolled: 1-line block ×6, first 2 shown]
	s_waitcnt lgkmcnt(0)
	v_mov_b32_e32 v39, s25
	v_pk_mov_b32 v[16:17], v[14:15], v[14:15] op_sel:[0,1]
	s_waitcnt vmcnt(0)
	v_xad_u32 v40, s33, -1, v0
	s_branch .LBB45_5
.LBB45_3:                               ;   in Loop: Header=BB45_5 Depth=1
	s_or_b64 exec, exec, s[28:29]
.LBB45_4:                               ;   in Loop: Header=BB45_5 Depth=1
	s_or_b64 exec, exec, s[4:5]
	v_add_u32_e32 v18, 1, v18
	v_cmp_ge_i32_e32 vcc, v18, v12
	s_or_b64 s[4:5], s[26:27], vcc
	s_and_b64 s[4:5], exec, s[4:5]
	s_or_b64 s[20:21], s[4:5], s[20:21]
	s_andn2_b64 exec, exec, s[20:21]
	s_cbranch_execz .LBB45_33
.LBB45_5:                               ; =>This Loop Header: Depth=1
                                        ;     Child Loop BB45_7 Depth 2
                                        ;     Child Loop BB45_11 Depth 2
	;; [unrolled: 1-line block ×3, first 2 shown]
                                        ;       Child Loop BB45_19 Depth 3
                                        ;     Child Loop BB45_30 Depth 2
	v_ashrrev_i32_e32 v19, 31, v18
	v_lshlrev_b64 v[0:1], 2, v[18:19]
	v_add_co_u32_e32 v0, vcc, s24, v0
	v_addc_co_u32_e32 v1, vcc, v39, v1, vcc
	global_load_dword v24, v[0:1], off
	v_lshlrev_b64 v[0:1], 4, v[18:19]
	v_add_co_u32_e32 v20, vcc, s8, v0
	v_addc_co_u32_e32 v21, vcc, v34, v1, vcc
	global_load_dwordx4 v[0:3], v[20:21], off
	s_waitcnt vmcnt(1)
	v_subrev_u32_e32 v4, s33, v24
	v_ashrrev_i32_e32 v5, 31, v4
	v_lshlrev_b64 v[4:5], 2, v[4:5]
	v_add_co_u32_e32 v22, vcc, s14, v4
	v_addc_co_u32_e32 v23, vcc, v35, v5, vcc
	v_add_co_u32_e32 v26, vcc, s10, v4
	v_addc_co_u32_e32 v27, vcc, v36, v5, vcc
	;; [unrolled: 2-line block ×3, first 2 shown]
	global_load_dword v19, v[22:23], off
	global_load_dword v6, v[26:27], off
	global_load_dword v7, v[4:5], off glc
	s_waitcnt vmcnt(0)
	v_cmp_eq_u32_e32 vcc, 0, v7
	s_and_saveexec_b64 s[4:5], vcc
	s_cbranch_execz .LBB45_8
; %bb.6:                                ;   in Loop: Header=BB45_5 Depth=1
	s_mov_b64 s[26:27], 0
.LBB45_7:                               ;   Parent Loop BB45_5 Depth=1
                                        ; =>  This Inner Loop Header: Depth=2
	global_load_dword v7, v[4:5], off glc
	s_waitcnt vmcnt(0)
	v_cmp_ne_u32_e32 vcc, 0, v7
	s_or_b64 s[26:27], vcc, s[26:27]
	s_andn2_b64 exec, exec, s[26:27]
	s_cbranch_execnz .LBB45_7
.LBB45_8:                               ;   in Loop: Header=BB45_5 Depth=1
	s_or_b64 exec, exec, s[4:5]
	v_cmp_eq_u32_e32 vcc, -1, v6
	v_cndmask_b32_e32 v22, v6, v32, vcc
	v_ashrrev_i32_e32 v23, 31, v22
	v_lshlrev_b64 v[4:5], 4, v[22:23]
	v_add_co_u32_e32 v4, vcc, s8, v4
	v_addc_co_u32_e32 v5, vcc, v34, v5, vcc
	buffer_wbinvl1_vol
	global_load_dwordx4 v[4:7], v[4:5], off
	s_waitcnt vmcnt(0)
	v_cmp_eq_f64_e64 s[4:5], 0, v[4:5]
	v_cmp_eq_f64_e32 vcc, 0, v[6:7]
	s_and_b64 s[26:27], s[4:5], vcc
	s_xor_b64 s[4:5], s[26:27], -1
	s_and_saveexec_b64 s[28:29], s[4:5]
	s_xor_b64 s[28:29], exec, s[28:29]
	s_cbranch_execz .LBB45_27
; %bb.9:                                ;   in Loop: Header=BB45_5 Depth=1
	v_cmp_ge_f64_e64 s[4:5], s[6:7], v[4:5]
	s_and_b64 s[4:5], s[0:1], s[4:5]
	s_and_b64 s[30:31], vcc, s[4:5]
	s_and_saveexec_b64 s[4:5], s[30:31]
	s_cbranch_execz .LBB45_14
; %bb.10:                               ;   in Loop: Header=BB45_5 Depth=1
	s_mov_b64 s[30:31], exec
	s_brev_b32 s11, -2
.LBB45_11:                              ;   Parent Loop BB45_5 Depth=1
                                        ; =>  This Inner Loop Header: Depth=2
	s_ff1_i32_b64 s15, s[30:31]
	v_readlane_b32 s36, v24, s15
	s_lshl_b64 s[34:35], 1, s15
	s_min_i32 s11, s11, s36
	s_andn2_b64 s[30:31], s[30:31], s[34:35]
	s_cmp_lg_u64 s[30:31], 0
	s_cbranch_scc1 .LBB45_11
; %bb.12:                               ;   in Loop: Header=BB45_5 Depth=1
	v_mbcnt_lo_u32_b32 v23, exec_lo, 0
	v_mbcnt_hi_u32_b32 v23, exec_hi, v23
	v_cmp_eq_u32_e32 vcc, 0, v23
	s_and_saveexec_b64 s[30:31], vcc
	s_xor_b64 s[30:31], exec, s[30:31]
	s_cbranch_execz .LBB45_14
; %bb.13:                               ;   in Loop: Header=BB45_5 Depth=1
	v_mov_b32_e32 v23, s11
	global_atomic_smin v38, v23, s[18:19]
.LBB45_14:                              ;   in Loop: Header=BB45_5 Depth=1
	s_or_b64 exec, exec, s[4:5]
	v_add_u32_e32 v28, v33, v19
	v_pk_mov_b32 v[24:25], 0, 0
	v_cmp_lt_i32_e32 vcc, v28, v22
	v_pk_mov_b32 v[26:27], v[24:25], v[24:25] op_sel:[0,1]
	s_and_saveexec_b64 s[4:5], vcc
	s_cbranch_execz .LBB45_24
; %bb.15:                               ;   in Loop: Header=BB45_5 Depth=1
	v_pk_mov_b32 v[24:25], 0, 0
	s_mov_b64 s[30:31], 0
	v_mov_b32_e32 v19, v13
	v_pk_mov_b32 v[26:27], v[24:25], v[24:25] op_sel:[0,1]
	s_branch .LBB45_17
.LBB45_16:                              ;   in Loop: Header=BB45_17 Depth=2
	s_or_b64 exec, exec, s[34:35]
	v_add_u32_e32 v28, 32, v28
	v_cmp_ge_i32_e32 vcc, v28, v22
	s_or_b64 s[30:31], vcc, s[30:31]
	s_andn2_b64 exec, exec, s[30:31]
	s_cbranch_execz .LBB45_23
.LBB45_17:                              ;   Parent Loop BB45_5 Depth=1
                                        ; =>  This Loop Header: Depth=2
                                        ;       Child Loop BB45_19 Depth 3
	v_ashrrev_i32_e32 v29, 31, v28
	v_add_u32_e32 v23, v19, v40
	v_lshlrev_b64 v[30:31], 2, v[28:29]
	v_mov_b32_e32 v41, s25
	v_add_co_u32_e32 v42, vcc, s24, v30
	v_ashrrev_i32_e32 v30, 1, v23
	v_addc_co_u32_e32 v43, vcc, v41, v31, vcc
	v_ashrrev_i32_e32 v31, 31, v30
	v_lshlrev_b64 v[44:45], 2, v[30:31]
	v_add_co_u32_e32 v44, vcc, s24, v44
	v_addc_co_u32_e32 v45, vcc, v41, v45, vcc
	global_load_dword v23, v[42:43], off
	global_load_dword v41, v[44:45], off
	v_cmp_lt_i32_e32 vcc, v19, v40
	s_and_saveexec_b64 s[34:35], vcc
	s_cbranch_execz .LBB45_21
; %bb.18:                               ;   in Loop: Header=BB45_17 Depth=2
	s_mov_b64 s[36:37], 0
	v_mov_b32_e32 v42, v40
.LBB45_19:                              ;   Parent Loop BB45_5 Depth=1
                                        ;     Parent Loop BB45_17 Depth=2
                                        ; =>    This Inner Loop Header: Depth=3
	v_add_u32_e32 v31, 1, v30
	s_waitcnt vmcnt(0)
	v_cmp_lt_i32_e32 vcc, v41, v23
	v_cndmask_b32_e32 v42, v30, v42, vcc
	v_cndmask_b32_e32 v19, v19, v31, vcc
	v_add_u32_e32 v30, v42, v19
	v_ashrrev_i32_e32 v30, 1, v30
	v_ashrrev_i32_e32 v31, 31, v30
	v_lshlrev_b64 v[44:45], 2, v[30:31]
	v_mov_b32_e32 v41, s25
	v_add_co_u32_e32 v44, vcc, s24, v44
	v_addc_co_u32_e32 v45, vcc, v41, v45, vcc
	global_load_dword v41, v[44:45], off
	v_cmp_ge_i32_e32 vcc, v19, v42
	s_or_b64 s[36:37], vcc, s[36:37]
	s_andn2_b64 exec, exec, s[36:37]
	s_cbranch_execnz .LBB45_19
; %bb.20:                               ;   in Loop: Header=BB45_17 Depth=2
	s_or_b64 exec, exec, s[36:37]
.LBB45_21:                              ;   in Loop: Header=BB45_17 Depth=2
	s_or_b64 exec, exec, s[34:35]
	s_waitcnt vmcnt(0)
	v_cmp_eq_u32_e32 vcc, v41, v23
	s_and_saveexec_b64 s[34:35], vcc
	s_cbranch_execz .LBB45_16
; %bb.22:                               ;   in Loop: Header=BB45_17 Depth=2
	v_lshlrev_b64 v[42:43], 4, v[28:29]
	v_mov_b32_e32 v23, s9
	v_add_co_u32_e32 v50, vcc, s8, v42
	v_addc_co_u32_e32 v51, vcc, v23, v43, vcc
	v_lshlrev_b64 v[30:31], 4, v[30:31]
	v_add_co_u32_e32 v30, vcc, s8, v30
	v_addc_co_u32_e32 v31, vcc, v23, v31, vcc
	global_load_dwordx4 v[42:45], v[50:51], off
	global_load_dwordx4 v[46:49], v[30:31], off
	s_waitcnt vmcnt(0)
	v_fmac_f64_e32 v[26:27], v[42:43], v[46:47]
	v_fmac_f64_e32 v[24:25], v[44:45], v[46:47]
	;; [unrolled: 1-line block ×3, first 2 shown]
	v_fma_f64 v[24:25], v[42:43], -v[48:49], v[24:25]
	s_branch .LBB45_16
.LBB45_23:                              ;   in Loop: Header=BB45_5 Depth=1
	s_or_b64 exec, exec, s[30:31]
.LBB45_24:                              ;   in Loop: Header=BB45_5 Depth=1
	s_or_b64 exec, exec, s[4:5]
	v_mov_b32_dpp v22, v26 row_shr:1 row_mask:0xf bank_mask:0xf
	v_mov_b32_dpp v23, v27 row_shr:1 row_mask:0xf bank_mask:0xf
	v_mov_b32_dpp v28, v24 row_shr:1 row_mask:0xf bank_mask:0xf
	v_mov_b32_dpp v29, v25 row_shr:1 row_mask:0xf bank_mask:0xf
	v_add_f64 v[22:23], v[26:27], v[22:23]
	v_add_f64 v[24:25], v[24:25], v[28:29]
	s_nop 0
	v_mov_b32_dpp v26, v22 row_shr:2 row_mask:0xf bank_mask:0xf
	v_mov_b32_dpp v27, v23 row_shr:2 row_mask:0xf bank_mask:0xf
	v_mov_b32_dpp v28, v24 row_shr:2 row_mask:0xf bank_mask:0xf
	v_mov_b32_dpp v29, v25 row_shr:2 row_mask:0xf bank_mask:0xf
	v_add_f64 v[22:23], v[22:23], v[26:27]
	v_add_f64 v[24:25], v[24:25], v[28:29]
	s_nop 0
	;; [unrolled: 7-line block ×4, first 2 shown]
	v_mov_b32_dpp v26, v22 row_bcast:15 row_mask:0xa bank_mask:0xf
	v_mov_b32_dpp v27, v23 row_bcast:15 row_mask:0xa bank_mask:0xf
	v_mov_b32_dpp v28, v24 row_bcast:15 row_mask:0xa bank_mask:0xf
	v_mov_b32_dpp v29, v25 row_bcast:15 row_mask:0xa bank_mask:0xf
	s_and_saveexec_b64 s[4:5], s[2:3]
	s_cbranch_execz .LBB45_26
; %bb.25:                               ;   in Loop: Header=BB45_5 Depth=1
	v_mul_f64 v[30:31], v[6:7], v[6:7]
	v_fmac_f64_e32 v[30:31], v[4:5], v[4:5]
	v_div_scale_f64 v[42:43], s[30:31], v[30:31], v[30:31], 1.0
	v_rcp_f64_e32 v[44:45], v[42:43]
	v_div_scale_f64 v[46:47], vcc, 1.0, v[30:31], 1.0
	v_add_f64 v[22:23], v[22:23], v[26:27]
	v_fma_f64 v[48:49], -v[42:43], v[44:45], 1.0
	v_fmac_f64_e32 v[44:45], v[44:45], v[48:49]
	v_fma_f64 v[48:49], -v[42:43], v[44:45], 1.0
	v_fmac_f64_e32 v[44:45], v[44:45], v[48:49]
	v_mul_f64 v[48:49], v[46:47], v[44:45]
	v_fma_f64 v[42:43], -v[42:43], v[48:49], v[46:47]
	v_div_fmas_f64 v[42:43], v[42:43], v[44:45], v[48:49]
	v_div_fixup_f64 v[30:31], v[42:43], v[30:31], 1.0
	v_fma_f64 v[42:43], 0, v[6:7], v[4:5]
	v_fma_f64 v[4:5], v[4:5], 0, -v[6:7]
	v_add_f64 v[6:7], v[24:25], v[28:29]
	v_mul_f64 v[4:5], v[4:5], v[30:31]
	v_add_f64 v[22:23], v[0:1], -v[22:23]
	v_add_f64 v[6:7], v[2:3], -v[6:7]
	v_mul_f64 v[42:43], v[42:43], v[30:31]
	v_mul_f64 v[0:1], v[4:5], -v[6:7]
	v_mul_f64 v[2:3], v[4:5], v[22:23]
	v_fmac_f64_e32 v[0:1], v[22:23], v[42:43]
	v_fmac_f64_e32 v[2:3], v[6:7], v[42:43]
	;; [unrolled: 1-line block ×5, first 2 shown]
	v_fma_f64 v[14:15], v[0:1], -v[2:3], v[14:15]
	global_store_dwordx4 v[20:21], v[0:3], off
.LBB45_26:                              ;   in Loop: Header=BB45_5 Depth=1
	s_or_b64 exec, exec, s[4:5]
                                        ; implicit-def: $vgpr24
.LBB45_27:                              ;   in Loop: Header=BB45_5 Depth=1
	s_andn2_saveexec_b64 s[4:5], s[28:29]
	s_cbranch_execz .LBB45_4
; %bb.28:                               ;   in Loop: Header=BB45_5 Depth=1
	s_and_saveexec_b64 s[28:29], s[0:1]
	s_cbranch_execz .LBB45_3
; %bb.29:                               ;   in Loop: Header=BB45_5 Depth=1
	s_mov_b64 s[30:31], exec
	s_brev_b32 s11, -2
.LBB45_30:                              ;   Parent Loop BB45_5 Depth=1
                                        ; =>  This Inner Loop Header: Depth=2
	s_ff1_i32_b64 s15, s[30:31]
	v_readlane_b32 s36, v24, s15
	s_lshl_b64 s[34:35], 1, s15
	s_min_i32 s11, s11, s36
	s_andn2_b64 s[30:31], s[30:31], s[34:35]
	s_cmp_lg_u64 s[30:31], 0
	s_cbranch_scc1 .LBB45_30
; %bb.31:                               ;   in Loop: Header=BB45_5 Depth=1
	v_mbcnt_lo_u32_b32 v0, exec_lo, 0
	v_mbcnt_hi_u32_b32 v0, exec_hi, v0
	v_cmp_eq_u32_e32 vcc, 0, v0
	s_and_saveexec_b64 s[30:31], vcc
	s_xor_b64 s[30:31], exec, s[30:31]
	s_cbranch_execz .LBB45_3
; %bb.32:                               ;   in Loop: Header=BB45_5 Depth=1
	v_mov_b32_e32 v0, s11
	global_atomic_smin v38, v0, s[16:17]
	s_branch .LBB45_3
.LBB45_33:
	s_or_b64 exec, exec, s[20:21]
.LBB45_34:
	s_or_b64 exec, exec, s[22:23]
	v_cmp_eq_u32_e64 s[0:1], 31, v11
	v_cmp_lt_i32_e32 vcc, -1, v12
	s_and_b64 s[2:3], s[0:1], vcc
	s_and_saveexec_b64 s[10:11], s[2:3]
	s_cbranch_execz .LBB45_51
; %bb.35:
	v_mov_b32_e32 v13, 0
	v_lshlrev_b64 v[0:1], 4, v[12:13]
	v_mov_b32_e32 v2, s9
	v_add_co_u32_e32 v0, vcc, s8, v0
	v_addc_co_u32_e32 v1, vcc, v2, v1, vcc
	global_load_dwordx4 v[2:5], v[0:1], off
	v_mul_f64 v[6:7], s[6:7], s[6:7]
	v_add_u32_e32 v10, s33, v10
	s_waitcnt vmcnt(0)
	v_add_f64 v[2:3], v[2:3], -v[16:17]
	v_add_f64 v[4:5], v[4:5], -v[14:15]
	v_cmp_eq_f64_e64 s[2:3], 0, v[4:5]
	v_cmp_le_f64_e64 s[4:5], v[2:3], v[6:7]
	v_cmp_neq_f64_e32 vcc, 0, v[4:5]
	s_and_b64 s[2:3], s[2:3], s[4:5]
	s_and_saveexec_b64 s[4:5], s[2:3]
	s_cbranch_execz .LBB45_40
; %bb.36:
	s_mov_b64 s[2:3], exec
	s_brev_b32 s6, -2
.LBB45_37:                              ; =>This Inner Loop Header: Depth=1
	s_ff1_i32_b64 s7, s[2:3]
	v_readlane_b32 s14, v10, s7
	s_lshl_b64 s[8:9], 1, s7
	s_min_i32 s6, s6, s14
	s_andn2_b64 s[2:3], s[2:3], s[8:9]
	s_cmp_lg_u64 s[2:3], 0
	s_cbranch_scc1 .LBB45_37
; %bb.38:
	v_mbcnt_lo_u32_b32 v6, exec_lo, 0
	v_mbcnt_hi_u32_b32 v6, exec_hi, v6
	v_cmp_eq_u32_e64 s[2:3], 0, v6
	s_and_saveexec_b64 s[8:9], s[2:3]
	s_xor_b64 s[8:9], exec, s[8:9]
	s_cbranch_execz .LBB45_40
; %bb.39:
	v_mov_b32_e32 v6, 0
	v_mov_b32_e32 v7, s6
	global_atomic_smin v6, v7, s[18:19]
.LBB45_40:
	s_or_b64 exec, exec, s[4:5]
	v_xor_b32_e32 v6, 0x80000000, v3
	v_cmp_gt_f64_e64 s[2:3], 0, v[2:3]
	v_cndmask_b32_e64 v3, v3, v6, s[2:3]
	v_cndmask_b32_e64 v2, v2, v2, s[2:3]
	v_xor_b32_e32 v6, 0x80000000, v5
	v_cmp_gt_f64_e64 s[2:3], 0, v[4:5]
	v_cndmask_b32_e64 v5, v5, v6, s[2:3]
	v_cndmask_b32_e64 v4, v4, v4, s[2:3]
	v_cmp_ngt_f64_e64 s[2:3], v[2:3], v[4:5]
                                        ; implicit-def: $vgpr6_vgpr7
	s_and_saveexec_b64 s[4:5], s[2:3]
	s_xor_b64 s[2:3], exec, s[4:5]
	s_cbranch_execz .LBB45_44
; %bb.41:
	v_pk_mov_b32 v[6:7], 0, 0
	s_and_saveexec_b64 s[4:5], vcc
	s_cbranch_execz .LBB45_43
; %bb.42:
	v_div_scale_f64 v[6:7], s[6:7], v[4:5], v[4:5], v[2:3]
	v_rcp_f64_e32 v[12:13], v[6:7]
	v_div_scale_f64 v[14:15], vcc, v[2:3], v[4:5], v[2:3]
	s_mov_b32 s6, 0
	v_fma_f64 v[16:17], -v[6:7], v[12:13], 1.0
	v_fmac_f64_e32 v[12:13], v[12:13], v[16:17]
	v_fma_f64 v[16:17], -v[6:7], v[12:13], 1.0
	v_fmac_f64_e32 v[12:13], v[12:13], v[16:17]
	v_mul_f64 v[16:17], v[14:15], v[12:13]
	v_fma_f64 v[6:7], -v[6:7], v[16:17], v[14:15]
	v_div_fmas_f64 v[6:7], v[6:7], v[12:13], v[16:17]
	v_div_fixup_f64 v[2:3], v[6:7], v[4:5], v[2:3]
	v_fma_f64 v[2:3], v[2:3], v[2:3], 1.0
	s_brev_b32 s7, 8
	v_cmp_gt_f64_e32 vcc, s[6:7], v[2:3]
	v_cndmask_b32_e64 v6, 0, 1, vcc
	v_lshlrev_b32_e32 v6, 8, v6
	v_ldexp_f64 v[2:3], v[2:3], v6
	v_rsq_f64_e32 v[6:7], v[2:3]
	v_mov_b32_e32 v11, 0x260
	v_mul_f64 v[12:13], v[2:3], v[6:7]
	v_mul_f64 v[6:7], v[6:7], 0.5
	v_fma_f64 v[14:15], -v[6:7], v[12:13], 0.5
	v_fmac_f64_e32 v[12:13], v[12:13], v[14:15]
	v_fma_f64 v[16:17], -v[12:13], v[12:13], v[2:3]
	v_fmac_f64_e32 v[6:7], v[6:7], v[14:15]
	v_fmac_f64_e32 v[12:13], v[16:17], v[6:7]
	v_fma_f64 v[14:15], -v[12:13], v[12:13], v[2:3]
	v_fmac_f64_e32 v[12:13], v[14:15], v[6:7]
	v_mov_b32_e32 v6, 0xffffff80
	v_cndmask_b32_e32 v6, 0, v6, vcc
	v_ldexp_f64 v[6:7], v[12:13], v6
	v_cmp_class_f64_e32 vcc, v[2:3], v11
	v_cndmask_b32_e32 v3, v7, v3, vcc
	v_cndmask_b32_e32 v2, v6, v2, vcc
	v_mul_f64 v[6:7], v[4:5], v[2:3]
.LBB45_43:
	s_or_b64 exec, exec, s[4:5]
                                        ; implicit-def: $vgpr2_vgpr3
                                        ; implicit-def: $vgpr4_vgpr5
.LBB45_44:
	s_andn2_saveexec_b64 s[2:3], s[2:3]
	s_cbranch_execz .LBB45_46
; %bb.45:
	v_div_scale_f64 v[6:7], s[4:5], v[2:3], v[2:3], v[4:5]
	v_rcp_f64_e32 v[12:13], v[6:7]
	v_div_scale_f64 v[14:15], vcc, v[4:5], v[2:3], v[4:5]
	s_mov_b32 s4, 0
	v_fma_f64 v[16:17], -v[6:7], v[12:13], 1.0
	v_fmac_f64_e32 v[12:13], v[12:13], v[16:17]
	v_fma_f64 v[16:17], -v[6:7], v[12:13], 1.0
	v_fmac_f64_e32 v[12:13], v[12:13], v[16:17]
	v_mul_f64 v[16:17], v[14:15], v[12:13]
	v_fma_f64 v[6:7], -v[6:7], v[16:17], v[14:15]
	v_div_fmas_f64 v[6:7], v[6:7], v[12:13], v[16:17]
	v_div_fixup_f64 v[4:5], v[6:7], v[2:3], v[4:5]
	v_fma_f64 v[4:5], v[4:5], v[4:5], 1.0
	s_brev_b32 s5, 8
	v_cmp_gt_f64_e32 vcc, s[4:5], v[4:5]
	v_cndmask_b32_e64 v6, 0, 1, vcc
	v_lshlrev_b32_e32 v6, 8, v6
	v_ldexp_f64 v[4:5], v[4:5], v6
	v_rsq_f64_e32 v[6:7], v[4:5]
	v_mov_b32_e32 v11, 0x260
	v_mul_f64 v[12:13], v[4:5], v[6:7]
	v_mul_f64 v[6:7], v[6:7], 0.5
	v_fma_f64 v[14:15], -v[6:7], v[12:13], 0.5
	v_fmac_f64_e32 v[12:13], v[12:13], v[14:15]
	v_fma_f64 v[16:17], -v[12:13], v[12:13], v[4:5]
	v_fmac_f64_e32 v[6:7], v[6:7], v[14:15]
	v_fmac_f64_e32 v[12:13], v[16:17], v[6:7]
	v_fma_f64 v[14:15], -v[12:13], v[12:13], v[4:5]
	v_fmac_f64_e32 v[12:13], v[14:15], v[6:7]
	v_mov_b32_e32 v6, 0xffffff80
	v_cndmask_b32_e32 v6, 0, v6, vcc
	v_ldexp_f64 v[6:7], v[12:13], v6
	v_cmp_class_f64_e32 vcc, v[4:5], v11
	v_cndmask_b32_e32 v5, v7, v5, vcc
	v_cndmask_b32_e32 v4, v6, v4, vcc
	v_mul_f64 v[6:7], v[2:3], v[4:5]
.LBB45_46:
	s_or_b64 exec, exec, s[2:3]
	s_mov_b32 s2, 0
	s_brev_b32 s3, 8
	v_cmp_gt_f64_e32 vcc, s[2:3], v[6:7]
	v_cndmask_b32_e64 v2, 0, 1, vcc
	v_lshlrev_b32_e32 v2, 8, v2
	v_ldexp_f64 v[2:3], v[6:7], v2
	v_rsq_f64_e32 v[4:5], v[2:3]
	v_mul_f64 v[6:7], v[2:3], v[4:5]
	v_mul_f64 v[4:5], v[4:5], 0.5
	v_fma_f64 v[12:13], -v[4:5], v[6:7], 0.5
	v_fmac_f64_e32 v[6:7], v[6:7], v[12:13]
	v_fma_f64 v[14:15], -v[6:7], v[6:7], v[2:3]
	v_fmac_f64_e32 v[4:5], v[4:5], v[12:13]
	v_fmac_f64_e32 v[6:7], v[14:15], v[4:5]
	v_fma_f64 v[12:13], -v[6:7], v[6:7], v[2:3]
	v_fmac_f64_e32 v[6:7], v[12:13], v[4:5]
	v_mov_b32_e32 v5, 0xffffff80
	v_cndmask_b32_e32 v5, 0, v5, vcc
	v_ldexp_f64 v[6:7], v[6:7], v5
	v_mov_b32_e32 v5, 0x260
	v_cmp_class_f64_e32 vcc, v[2:3], v5
	v_mov_b32_e32 v4, 0
	v_cndmask_b32_e32 v3, v7, v3, vcc
	v_cndmask_b32_e32 v2, v6, v2, vcc
	v_mov_b32_e32 v5, v4
	v_cmp_eq_f64_e32 vcc, 0, v[2:3]
	global_store_dwordx4 v[0:1], v[2:5], off
	s_and_b64 exec, exec, vcc
	s_cbranch_execz .LBB45_51
; %bb.47:
	s_mov_b64 s[2:3], exec
	s_brev_b32 s4, -2
.LBB45_48:                              ; =>This Inner Loop Header: Depth=1
	s_ff1_i32_b64 s5, s[2:3]
	v_readlane_b32 s8, v10, s5
	s_lshl_b64 s[6:7], 1, s5
	s_min_i32 s4, s4, s8
	s_andn2_b64 s[2:3], s[2:3], s[6:7]
	s_cmp_lg_u64 s[2:3], 0
	s_cbranch_scc1 .LBB45_48
; %bb.49:
	v_mbcnt_lo_u32_b32 v0, exec_lo, 0
	v_mbcnt_hi_u32_b32 v0, exec_hi, v0
	v_cmp_eq_u32_e32 vcc, 0, v0
	s_and_saveexec_b64 s[2:3], vcc
	s_xor_b64 s[2:3], exec, s[2:3]
	s_cbranch_execz .LBB45_51
; %bb.50:
	v_mov_b32_e32 v0, 0
	v_mov_b32_e32 v1, s4
	global_atomic_smin v0, v1, s[16:17]
.LBB45_51:
	s_or_b64 exec, exec, s[10:11]
	s_and_b64 exec, exec, s[0:1]
	s_cbranch_execz .LBB45_53
; %bb.52:
	v_mov_b32_e32 v1, s13
	v_add_co_u32_e32 v0, vcc, s12, v8
	v_addc_co_u32_e32 v1, vcc, v1, v9, vcc
	v_mov_b32_e32 v2, 1
	s_waitcnt vmcnt(0)
	global_store_dword v[0:1], v2, off
.LBB45_53:
	s_endpgm
	.section	.rodata,"a",@progbits
	.p2align	6, 0x0
	.amdhsa_kernel _ZN9rocsparseL23csric0_binsearch_kernelILj256ELj32ELb0E21rocsparse_complex_numIdEEEviPKiS4_PT2_S4_PiS4_S7_S7_d21rocsparse_index_base_
		.amdhsa_group_segment_fixed_size 0
		.amdhsa_private_segment_fixed_size 0
		.amdhsa_kernarg_size 84
		.amdhsa_user_sgpr_count 6
		.amdhsa_user_sgpr_private_segment_buffer 1
		.amdhsa_user_sgpr_dispatch_ptr 0
		.amdhsa_user_sgpr_queue_ptr 0
		.amdhsa_user_sgpr_kernarg_segment_ptr 1
		.amdhsa_user_sgpr_dispatch_id 0
		.amdhsa_user_sgpr_flat_scratch_init 0
		.amdhsa_user_sgpr_kernarg_preload_length 0
		.amdhsa_user_sgpr_kernarg_preload_offset 0
		.amdhsa_user_sgpr_private_segment_size 0
		.amdhsa_uses_dynamic_stack 0
		.amdhsa_system_sgpr_private_segment_wavefront_offset 0
		.amdhsa_system_sgpr_workgroup_id_x 1
		.amdhsa_system_sgpr_workgroup_id_y 0
		.amdhsa_system_sgpr_workgroup_id_z 0
		.amdhsa_system_sgpr_workgroup_info 0
		.amdhsa_system_vgpr_workitem_id 0
		.amdhsa_next_free_vgpr 52
		.amdhsa_next_free_sgpr 38
		.amdhsa_accum_offset 52
		.amdhsa_reserve_vcc 1
		.amdhsa_reserve_flat_scratch 0
		.amdhsa_float_round_mode_32 0
		.amdhsa_float_round_mode_16_64 0
		.amdhsa_float_denorm_mode_32 3
		.amdhsa_float_denorm_mode_16_64 3
		.amdhsa_dx10_clamp 1
		.amdhsa_ieee_mode 1
		.amdhsa_fp16_overflow 0
		.amdhsa_tg_split 0
		.amdhsa_exception_fp_ieee_invalid_op 0
		.amdhsa_exception_fp_denorm_src 0
		.amdhsa_exception_fp_ieee_div_zero 0
		.amdhsa_exception_fp_ieee_overflow 0
		.amdhsa_exception_fp_ieee_underflow 0
		.amdhsa_exception_fp_ieee_inexact 0
		.amdhsa_exception_int_div_zero 0
	.end_amdhsa_kernel
	.section	.text._ZN9rocsparseL23csric0_binsearch_kernelILj256ELj32ELb0E21rocsparse_complex_numIdEEEviPKiS4_PT2_S4_PiS4_S7_S7_d21rocsparse_index_base_,"axG",@progbits,_ZN9rocsparseL23csric0_binsearch_kernelILj256ELj32ELb0E21rocsparse_complex_numIdEEEviPKiS4_PT2_S4_PiS4_S7_S7_d21rocsparse_index_base_,comdat
.Lfunc_end45:
	.size	_ZN9rocsparseL23csric0_binsearch_kernelILj256ELj32ELb0E21rocsparse_complex_numIdEEEviPKiS4_PT2_S4_PiS4_S7_S7_d21rocsparse_index_base_, .Lfunc_end45-_ZN9rocsparseL23csric0_binsearch_kernelILj256ELj32ELb0E21rocsparse_complex_numIdEEEviPKiS4_PT2_S4_PiS4_S7_S7_d21rocsparse_index_base_
                                        ; -- End function
	.section	.AMDGPU.csdata,"",@progbits
; Kernel info:
; codeLenInByte = 2712
; NumSgprs: 42
; NumVgprs: 52
; NumAgprs: 0
; TotalNumVgprs: 52
; ScratchSize: 0
; MemoryBound: 1
; FloatMode: 240
; IeeeMode: 1
; LDSByteSize: 0 bytes/workgroup (compile time only)
; SGPRBlocks: 5
; VGPRBlocks: 6
; NumSGPRsForWavesPerEU: 42
; NumVGPRsForWavesPerEU: 52
; AccumOffset: 52
; Occupancy: 8
; WaveLimiterHint : 1
; COMPUTE_PGM_RSRC2:SCRATCH_EN: 0
; COMPUTE_PGM_RSRC2:USER_SGPR: 6
; COMPUTE_PGM_RSRC2:TRAP_HANDLER: 0
; COMPUTE_PGM_RSRC2:TGID_X_EN: 1
; COMPUTE_PGM_RSRC2:TGID_Y_EN: 0
; COMPUTE_PGM_RSRC2:TGID_Z_EN: 0
; COMPUTE_PGM_RSRC2:TIDIG_COMP_CNT: 0
; COMPUTE_PGM_RSRC3_GFX90A:ACCUM_OFFSET: 12
; COMPUTE_PGM_RSRC3_GFX90A:TG_SPLIT: 0
	.section	.text._ZN9rocsparseL18csric0_hash_kernelILj256ELj64ELj1E21rocsparse_complex_numIdEEEviPKiS4_PT2_S4_PiS4_S7_S7_d21rocsparse_index_base_,"axG",@progbits,_ZN9rocsparseL18csric0_hash_kernelILj256ELj64ELj1E21rocsparse_complex_numIdEEEviPKiS4_PT2_S4_PiS4_S7_S7_d21rocsparse_index_base_,comdat
	.globl	_ZN9rocsparseL18csric0_hash_kernelILj256ELj64ELj1E21rocsparse_complex_numIdEEEviPKiS4_PT2_S4_PiS4_S7_S7_d21rocsparse_index_base_ ; -- Begin function _ZN9rocsparseL18csric0_hash_kernelILj256ELj64ELj1E21rocsparse_complex_numIdEEEviPKiS4_PT2_S4_PiS4_S7_S7_d21rocsparse_index_base_
	.p2align	8
	.type	_ZN9rocsparseL18csric0_hash_kernelILj256ELj64ELj1E21rocsparse_complex_numIdEEEviPKiS4_PT2_S4_PiS4_S7_S7_d21rocsparse_index_base_,@function
_ZN9rocsparseL18csric0_hash_kernelILj256ELj64ELj1E21rocsparse_complex_numIdEEEviPKiS4_PT2_S4_PiS4_S7_S7_d21rocsparse_index_base_: ; @_ZN9rocsparseL18csric0_hash_kernelILj256ELj64ELj1E21rocsparse_complex_numIdEEEviPKiS4_PT2_S4_PiS4_S7_S7_d21rocsparse_index_base_
; %bb.0:
	s_load_dword s0, s[4:5], 0x0
	s_lshl_b32 s1, s6, 2
	v_and_b32_e32 v13, 63, v0
	v_and_b32_e32 v1, 0xc0, v0
	v_mov_b32_e32 v2, 0x400
	v_lshrrev_b32_e32 v0, 6, v0
	s_and_b32 s1, s1, 0x3fffffc
	v_lshl_or_b32 v30, v1, 2, v2
	v_or_b32_e32 v0, s1, v0
	v_lshl_or_b32 v2, v13, 2, v30
	v_mov_b32_e32 v3, -1
	s_waitcnt lgkmcnt(0)
	v_cmp_gt_i32_e32 vcc, s0, v0
	ds_write_b32 v2, v3
	s_waitcnt lgkmcnt(0)
	s_and_saveexec_b64 s[0:1], vcc
	s_cbranch_execz .LBB46_52
; %bb.1:
	s_load_dwordx8 s[8:15], s[4:5], 0x28
	v_lshlrev_b32_e32 v0, 2, v0
	s_load_dwordx8 s[16:23], s[4:5], 0x8
	s_load_dword s33, s[4:5], 0x50
	s_waitcnt lgkmcnt(0)
	global_load_dword v10, v0, s[10:11]
	v_mov_b32_e32 v3, s17
	v_mov_b32_e32 v0, s23
	s_waitcnt vmcnt(0)
	v_ashrrev_i32_e32 v11, 31, v10
	v_lshlrev_b64 v[8:9], 2, v[10:11]
	v_add_co_u32_e32 v2, vcc, s16, v8
	v_addc_co_u32_e32 v3, vcc, v3, v9, vcc
	global_load_dwordx2 v[2:3], v[2:3], off
	v_add_co_u32_e32 v4, vcc, s22, v8
	v_addc_co_u32_e32 v5, vcc, v0, v9, vcc
	global_load_dword v12, v[4:5], off
	v_lshlrev_b32_e32 v11, 2, v1
	s_waitcnt vmcnt(1)
	v_subrev_u32_e32 v14, s33, v2
	v_subrev_u32_e32 v2, s33, v3
	v_add_u32_e32 v0, v14, v13
	v_cmp_lt_i32_e32 vcc, v0, v2
	s_and_saveexec_b64 s[0:1], vcc
	s_cbranch_execz .LBB46_11
; %bb.2:
	s_mov_b64 s[2:3], 0
	v_mov_b32_e32 v3, s19
	v_mov_b32_e32 v4, -1
	s_branch .LBB46_4
.LBB46_3:                               ;   in Loop: Header=BB46_4 Depth=1
	s_or_b64 exec, exec, s[6:7]
	v_add_u32_e32 v0, 64, v0
	v_cmp_ge_i32_e32 vcc, v0, v2
	s_or_b64 s[2:3], vcc, s[2:3]
	s_andn2_b64 exec, exec, s[2:3]
	s_cbranch_execz .LBB46_11
.LBB46_4:                               ; =>This Loop Header: Depth=1
                                        ;     Child Loop BB46_7 Depth 2
	v_ashrrev_i32_e32 v1, 31, v0
	v_lshlrev_b64 v[6:7], 2, v[0:1]
	v_add_co_u32_e32 v6, vcc, s18, v6
	v_addc_co_u32_e32 v7, vcc, v3, v7, vcc
	global_load_dword v1, v[6:7], off
	s_waitcnt vmcnt(0)
	v_mul_lo_u32 v5, v1, 39
	v_and_b32_e32 v5, 63, v5
	v_lshl_add_u32 v6, v5, 2, v30
	ds_read_b32 v7, v6
	s_waitcnt lgkmcnt(0)
	v_cmp_ne_u32_e32 vcc, v7, v1
	s_and_saveexec_b64 s[6:7], vcc
	s_cbranch_execz .LBB46_3
; %bb.5:                                ;   in Loop: Header=BB46_4 Depth=1
	s_mov_b64 s[10:11], 0
                                        ; implicit-def: $sgpr24_sgpr25
                                        ; implicit-def: $sgpr28_sgpr29
                                        ; implicit-def: $sgpr26_sgpr27
	s_branch .LBB46_7
.LBB46_6:                               ;   in Loop: Header=BB46_7 Depth=2
	s_or_b64 exec, exec, s[30:31]
	s_and_b64 s[30:31], exec, s[28:29]
	s_or_b64 s[10:11], s[30:31], s[10:11]
	s_andn2_b64 s[24:25], s[24:25], exec
	s_and_b64 s[30:31], s[26:27], exec
	s_or_b64 s[24:25], s[24:25], s[30:31]
	s_andn2_b64 exec, exec, s[10:11]
	s_cbranch_execz .LBB46_9
.LBB46_7:                               ;   Parent Loop BB46_4 Depth=1
                                        ; =>  This Inner Loop Header: Depth=2
	ds_cmpst_rtn_b32 v6, v6, v4, v1
	v_mov_b32_e32 v7, v5
	s_or_b64 s[26:27], s[26:27], exec
	s_or_b64 s[28:29], s[28:29], exec
                                        ; implicit-def: $vgpr5
	s_waitcnt lgkmcnt(0)
	v_cmp_ne_u32_e32 vcc, -1, v6
                                        ; implicit-def: $vgpr6
	s_and_saveexec_b64 s[30:31], vcc
	s_cbranch_execz .LBB46_6
; %bb.8:                                ;   in Loop: Header=BB46_7 Depth=2
	v_add_u32_e32 v5, 1, v7
	v_and_b32_e32 v5, 63, v5
	v_lshl_add_u32 v6, v5, 2, v30
	ds_read_b32 v15, v6
	s_andn2_b64 s[28:29], s[28:29], exec
	s_andn2_b64 s[26:27], s[26:27], exec
	s_waitcnt lgkmcnt(0)
	v_cmp_eq_u32_e32 vcc, v15, v1
	s_and_b64 s[34:35], vcc, exec
	s_or_b64 s[28:29], s[28:29], s[34:35]
	s_branch .LBB46_6
.LBB46_9:                               ;   in Loop: Header=BB46_4 Depth=1
	s_or_b64 exec, exec, s[10:11]
	s_and_saveexec_b64 s[10:11], s[24:25]
	s_xor_b64 s[10:11], exec, s[10:11]
	s_cbranch_execz .LBB46_3
; %bb.10:                               ;   in Loop: Header=BB46_4 Depth=1
	v_lshl_add_u32 v1, v7, 2, v11
	ds_write_b32 v1, v0
	s_branch .LBB46_3
.LBB46_11:
	s_or_b64 exec, exec, s[0:1]
	v_pk_mov_b32 v[16:17], 0, 0
	s_waitcnt vmcnt(0)
	v_cmp_lt_i32_e32 vcc, v14, v12
	s_mov_b64 s[10:11], 0
	v_pk_mov_b32 v[18:19], v[16:17], v[16:17] op_sel:[0,1]
	s_waitcnt lgkmcnt(0)
	s_and_saveexec_b64 s[6:7], vcc
	s_cbranch_execz .LBB46_33
; %bb.12:
	v_pk_mov_b32 v[16:17], 0, 0
	v_add_u32_e32 v31, -1, v12
	v_subrev_u32_e32 v32, s33, v13
	v_cmp_eq_u32_e64 s[0:1], 63, v13
	v_mov_b32_e32 v33, s19
	v_mov_b32_e32 v34, s21
	;; [unrolled: 1-line block ×5, first 2 shown]
	v_pk_mov_b32 v[18:19], v[16:17], v[16:17] op_sel:[0,1]
	s_branch .LBB46_15
.LBB46_13:                              ;   in Loop: Header=BB46_15 Depth=1
	s_or_b64 exec, exec, s[24:25]
	v_add_u32_e32 v14, 1, v14
	v_cmp_ge_i32_e32 vcc, v14, v12
	s_orn2_b64 s[24:25], vcc, exec
.LBB46_14:                              ;   in Loop: Header=BB46_15 Depth=1
	s_or_b64 exec, exec, s[2:3]
	s_and_b64 s[2:3], exec, s[24:25]
	s_or_b64 s[10:11], s[2:3], s[10:11]
	s_andn2_b64 exec, exec, s[10:11]
	s_cbranch_execz .LBB46_32
.LBB46_15:                              ; =>This Loop Header: Depth=1
                                        ;     Child Loop BB46_16 Depth 2
                                        ;     Child Loop BB46_22 Depth 2
                                        ;       Child Loop BB46_25 Depth 3
	v_ashrrev_i32_e32 v15, 31, v14
	v_lshlrev_b64 v[0:1], 2, v[14:15]
	v_add_co_u32_e32 v0, vcc, s18, v0
	v_addc_co_u32_e32 v1, vcc, v33, v1, vcc
	global_load_dword v4, v[0:1], off
	v_lshlrev_b64 v[0:1], 4, v[14:15]
	v_add_co_u32_e32 v20, vcc, s20, v0
	v_addc_co_u32_e32 v21, vcc, v34, v1, vcc
	global_load_dwordx4 v[0:3], v[20:21], off
	s_mov_b64 s[2:3], 0
	s_waitcnt vmcnt(1)
	v_subrev_u32_e32 v4, s33, v4
	v_ashrrev_i32_e32 v5, 31, v4
	v_lshlrev_b64 v[4:5], 2, v[4:5]
	v_add_co_u32_e32 v22, vcc, s16, v4
	v_addc_co_u32_e32 v23, vcc, v35, v5, vcc
	v_add_co_u32_e32 v24, vcc, s22, v4
	v_addc_co_u32_e32 v25, vcc, v36, v5, vcc
	global_load_dword v15, v[22:23], off
	global_load_dword v6, v[24:25], off
	v_add_co_u32_e32 v4, vcc, s8, v4
	v_addc_co_u32_e32 v5, vcc, v37, v5, vcc
.LBB46_16:                              ;   Parent Loop BB46_15 Depth=1
                                        ; =>  This Inner Loop Header: Depth=2
	global_load_dword v7, v[4:5], off glc
	s_waitcnt vmcnt(0)
	v_cmp_ne_u32_e32 vcc, 0, v7
	s_or_b64 s[2:3], vcc, s[2:3]
	s_andn2_b64 exec, exec, s[2:3]
	s_cbranch_execnz .LBB46_16
; %bb.17:                               ;   in Loop: Header=BB46_15 Depth=1
	s_or_b64 exec, exec, s[2:3]
	v_cmp_eq_u32_e32 vcc, -1, v6
	v_cndmask_b32_e32 v24, v6, v31, vcc
	v_ashrrev_i32_e32 v25, 31, v24
	v_lshlrev_b64 v[4:5], 4, v[24:25]
	v_add_co_u32_e32 v4, vcc, s20, v4
	v_addc_co_u32_e32 v5, vcc, v34, v5, vcc
	buffer_wbinvl1_vol
	global_load_dwordx4 v[4:7], v[4:5], off
	s_mov_b64 s[24:25], -1
	s_waitcnt vmcnt(0)
	v_cmp_neq_f64_e32 vcc, 0, v[4:5]
	v_cmp_neq_f64_e64 s[2:3], 0, v[6:7]
	s_or_b64 s[26:27], vcc, s[2:3]
	s_and_saveexec_b64 s[2:3], s[26:27]
	s_cbranch_execz .LBB46_14
; %bb.18:                               ;   in Loop: Header=BB46_15 Depth=1
	v_add_u32_e32 v28, v32, v15
	v_pk_mov_b32 v[22:23], 0, 0
	v_cmp_lt_i32_e32 vcc, v28, v24
	v_pk_mov_b32 v[26:27], v[22:23], v[22:23] op_sel:[0,1]
	s_and_saveexec_b64 s[24:25], vcc
	s_cbranch_execz .LBB46_30
; %bb.19:                               ;   in Loop: Header=BB46_15 Depth=1
	v_pk_mov_b32 v[22:23], 0, 0
	s_mov_b64 s[26:27], 0
	v_pk_mov_b32 v[26:27], v[22:23], v[22:23] op_sel:[0,1]
	s_branch .LBB46_22
.LBB46_20:                              ;   in Loop: Header=BB46_22 Depth=2
	s_or_b64 exec, exec, s[30:31]
.LBB46_21:                              ;   in Loop: Header=BB46_22 Depth=2
	s_or_b64 exec, exec, s[28:29]
	v_add_u32_e32 v28, 64, v28
	v_cmp_ge_i32_e32 vcc, v28, v24
	s_or_b64 s[26:27], vcc, s[26:27]
	s_andn2_b64 exec, exec, s[26:27]
	s_cbranch_execz .LBB46_29
.LBB46_22:                              ;   Parent Loop BB46_15 Depth=1
                                        ; =>  This Loop Header: Depth=2
                                        ;       Child Loop BB46_25 Depth 3
	v_ashrrev_i32_e32 v29, 31, v28
	v_lshlrev_b64 v[38:39], 2, v[28:29]
	v_mov_b32_e32 v15, s19
	v_add_co_u32_e32 v38, vcc, s18, v38
	v_addc_co_u32_e32 v39, vcc, v15, v39, vcc
	global_load_dword v15, v[38:39], off
	s_waitcnt vmcnt(0)
	v_mul_lo_u32 v25, v15, 39
	v_and_b32_e32 v39, 63, v25
	v_lshl_add_u32 v25, v39, 2, v30
	ds_read_b32 v38, v25
	s_waitcnt lgkmcnt(0)
	v_cmp_ne_u32_e32 vcc, -1, v38
	s_and_saveexec_b64 s[28:29], vcc
	s_cbranch_execz .LBB46_21
; %bb.23:                               ;   in Loop: Header=BB46_22 Depth=2
	s_mov_b64 s[34:35], 0
                                        ; implicit-def: $sgpr30_sgpr31
                                        ; implicit-def: $sgpr38_sgpr39
                                        ; implicit-def: $sgpr36_sgpr37
	s_branch .LBB46_25
.LBB46_24:                              ;   in Loop: Header=BB46_25 Depth=3
	s_or_b64 exec, exec, s[40:41]
	s_and_b64 s[40:41], exec, s[38:39]
	s_or_b64 s[34:35], s[40:41], s[34:35]
	s_andn2_b64 s[30:31], s[30:31], exec
	s_and_b64 s[40:41], s[36:37], exec
	s_or_b64 s[30:31], s[30:31], s[40:41]
	s_andn2_b64 exec, exec, s[34:35]
	s_cbranch_execz .LBB46_27
.LBB46_25:                              ;   Parent Loop BB46_15 Depth=1
                                        ;     Parent Loop BB46_22 Depth=2
                                        ; =>    This Inner Loop Header: Depth=3
	v_mov_b32_e32 v25, v39
	v_cmp_ne_u32_e32 vcc, v38, v15
	s_or_b64 s[36:37], s[36:37], exec
	s_or_b64 s[38:39], s[38:39], exec
                                        ; implicit-def: $vgpr39
                                        ; implicit-def: $vgpr38
	s_and_saveexec_b64 s[40:41], vcc
	s_cbranch_execz .LBB46_24
; %bb.26:                               ;   in Loop: Header=BB46_25 Depth=3
	v_add_u32_e32 v38, 1, v25
	v_and_b32_e32 v39, 63, v38
	v_lshl_add_u32 v38, v39, 2, v30
	ds_read_b32 v38, v38
	s_andn2_b64 s[38:39], s[38:39], exec
	s_andn2_b64 s[36:37], s[36:37], exec
	s_waitcnt lgkmcnt(0)
	v_cmp_eq_u32_e32 vcc, -1, v38
	s_and_b64 s[42:43], vcc, exec
	s_or_b64 s[38:39], s[38:39], s[42:43]
	s_branch .LBB46_24
.LBB46_27:                              ;   in Loop: Header=BB46_22 Depth=2
	s_or_b64 exec, exec, s[34:35]
	s_and_saveexec_b64 s[34:35], s[30:31]
	s_xor_b64 s[30:31], exec, s[34:35]
	s_cbranch_execz .LBB46_20
; %bb.28:                               ;   in Loop: Header=BB46_22 Depth=2
	v_lshl_add_u32 v15, v25, 2, v11
	ds_read_b32 v38, v15
	v_lshlrev_b64 v[40:41], 4, v[28:29]
	v_mov_b32_e32 v15, s21
	v_add_co_u32_e32 v46, vcc, s20, v40
	s_waitcnt lgkmcnt(0)
	v_ashrrev_i32_e32 v39, 31, v38
	v_addc_co_u32_e32 v47, vcc, v15, v41, vcc
	v_lshlrev_b64 v[38:39], 4, v[38:39]
	v_add_co_u32_e32 v48, vcc, s20, v38
	v_addc_co_u32_e32 v49, vcc, v15, v39, vcc
	global_load_dwordx4 v[38:41], v[46:47], off
	global_load_dwordx4 v[42:45], v[48:49], off
	s_waitcnt vmcnt(0)
	v_fmac_f64_e32 v[26:27], v[38:39], v[42:43]
	v_fmac_f64_e32 v[22:23], v[40:41], v[42:43]
	;; [unrolled: 1-line block ×3, first 2 shown]
	v_fma_f64 v[22:23], v[38:39], -v[44:45], v[22:23]
	s_branch .LBB46_20
.LBB46_29:                              ;   in Loop: Header=BB46_15 Depth=1
	s_or_b64 exec, exec, s[26:27]
.LBB46_30:                              ;   in Loop: Header=BB46_15 Depth=1
	s_or_b64 exec, exec, s[24:25]
	v_mov_b32_dpp v24, v26 row_shr:1 row_mask:0xf bank_mask:0xf
	v_mov_b32_dpp v25, v27 row_shr:1 row_mask:0xf bank_mask:0xf
	v_mov_b32_dpp v28, v22 row_shr:1 row_mask:0xf bank_mask:0xf
	v_mov_b32_dpp v29, v23 row_shr:1 row_mask:0xf bank_mask:0xf
	v_add_f64 v[24:25], v[26:27], v[24:25]
	v_add_f64 v[22:23], v[22:23], v[28:29]
	s_nop 0
	v_mov_b32_dpp v26, v24 row_shr:2 row_mask:0xf bank_mask:0xf
	v_mov_b32_dpp v27, v25 row_shr:2 row_mask:0xf bank_mask:0xf
	v_mov_b32_dpp v28, v22 row_shr:2 row_mask:0xf bank_mask:0xf
	v_mov_b32_dpp v29, v23 row_shr:2 row_mask:0xf bank_mask:0xf
	v_add_f64 v[24:25], v[24:25], v[26:27]
	v_add_f64 v[22:23], v[22:23], v[28:29]
	s_nop 0
	;; [unrolled: 7-line block ×4, first 2 shown]
	v_mov_b32_dpp v26, v24 row_bcast:15 row_mask:0xa bank_mask:0xf
	v_mov_b32_dpp v27, v25 row_bcast:15 row_mask:0xa bank_mask:0xf
	;; [unrolled: 1-line block ×4, first 2 shown]
	v_add_f64 v[24:25], v[24:25], v[26:27]
	v_add_f64 v[22:23], v[22:23], v[28:29]
	s_nop 0
	v_mov_b32_dpp v26, v24 row_bcast:31 row_mask:0xc bank_mask:0xf
	v_mov_b32_dpp v27, v25 row_bcast:31 row_mask:0xc bank_mask:0xf
	;; [unrolled: 1-line block ×4, first 2 shown]
	s_and_saveexec_b64 s[24:25], s[0:1]
	s_cbranch_execz .LBB46_13
; %bb.31:                               ;   in Loop: Header=BB46_15 Depth=1
	v_mul_f64 v[38:39], v[6:7], v[6:7]
	v_fmac_f64_e32 v[38:39], v[4:5], v[4:5]
	v_div_scale_f64 v[40:41], s[26:27], v[38:39], v[38:39], 1.0
	v_rcp_f64_e32 v[42:43], v[40:41]
	v_div_scale_f64 v[44:45], vcc, 1.0, v[38:39], 1.0
	v_fma_f64 v[46:47], -v[40:41], v[42:43], 1.0
	v_fmac_f64_e32 v[42:43], v[42:43], v[46:47]
	v_fma_f64 v[46:47], -v[40:41], v[42:43], 1.0
	v_fmac_f64_e32 v[42:43], v[42:43], v[46:47]
	v_mul_f64 v[46:47], v[44:45], v[42:43]
	v_fma_f64 v[40:41], -v[40:41], v[46:47], v[44:45]
	v_div_fmas_f64 v[40:41], v[40:41], v[42:43], v[46:47]
	v_div_fixup_f64 v[38:39], v[40:41], v[38:39], 1.0
	v_fma_f64 v[40:41], 0, v[6:7], v[4:5]
	v_fma_f64 v[4:5], v[4:5], 0, -v[6:7]
	v_add_f64 v[6:7], v[22:23], v[28:29]
	v_add_f64 v[22:23], v[24:25], v[26:27]
	v_mul_f64 v[4:5], v[4:5], v[38:39]
	v_add_f64 v[22:23], v[0:1], -v[22:23]
	v_add_f64 v[6:7], v[2:3], -v[6:7]
	v_mul_f64 v[40:41], v[40:41], v[38:39]
	v_mul_f64 v[0:1], v[4:5], -v[6:7]
	v_mul_f64 v[2:3], v[4:5], v[22:23]
	v_fmac_f64_e32 v[0:1], v[22:23], v[40:41]
	v_fmac_f64_e32 v[2:3], v[6:7], v[40:41]
	;; [unrolled: 1-line block ×5, first 2 shown]
	v_fma_f64 v[16:17], v[0:1], -v[2:3], v[16:17]
	global_store_dwordx4 v[20:21], v[0:3], off
	s_branch .LBB46_13
.LBB46_32:
	s_or_b64 exec, exec, s[10:11]
.LBB46_33:
	s_or_b64 exec, exec, s[6:7]
	v_cmp_eq_u32_e64 s[0:1], 63, v13
	v_cmp_lt_i32_e32 vcc, -1, v12
	s_and_b64 s[2:3], s[0:1], vcc
	s_and_saveexec_b64 s[6:7], s[2:3]
	s_cbranch_execz .LBB46_50
; %bb.34:
	v_mov_b32_e32 v13, 0
	v_lshlrev_b64 v[0:1], 4, v[12:13]
	v_mov_b32_e32 v2, s21
	v_add_co_u32_e32 v0, vcc, s20, v0
	v_addc_co_u32_e32 v1, vcc, v2, v1, vcc
	global_load_dwordx4 v[2:5], v[0:1], off
	s_load_dwordx2 s[2:3], s[4:5], 0x48
	s_waitcnt lgkmcnt(0)
	v_mul_f64 v[12:13], s[2:3], s[2:3]
	s_waitcnt vmcnt(0)
	v_add_f64 v[2:3], v[2:3], -v[18:19]
	v_add_f64 v[6:7], v[4:5], -v[16:17]
	v_cmp_le_f64_e32 vcc, v[2:3], v[12:13]
	v_cmp_eq_f64_e64 s[2:3], 0, v[6:7]
	s_and_b64 s[4:5], vcc, s[2:3]
	v_add_u32_e32 v12, s33, v10
	s_and_saveexec_b64 s[2:3], s[4:5]
	s_cbranch_execz .LBB46_39
; %bb.35:
	s_mov_b64 s[4:5], exec
	s_brev_b32 s10, -2
.LBB46_36:                              ; =>This Inner Loop Header: Depth=1
	s_ff1_i32_b64 s11, s[4:5]
	v_readlane_b32 s18, v12, s11
	s_lshl_b64 s[16:17], 1, s11
	s_min_i32 s10, s10, s18
	s_andn2_b64 s[4:5], s[4:5], s[16:17]
	s_cmp_lg_u64 s[4:5], 0
	s_cbranch_scc1 .LBB46_36
; %bb.37:
	v_mbcnt_lo_u32_b32 v4, exec_lo, 0
	v_mbcnt_hi_u32_b32 v4, exec_hi, v4
	v_cmp_eq_u32_e32 vcc, 0, v4
	s_and_saveexec_b64 s[4:5], vcc
	s_xor_b64 s[4:5], exec, s[4:5]
	s_cbranch_execz .LBB46_39
; %bb.38:
	v_mov_b32_e32 v4, 0
	v_mov_b32_e32 v5, s10
	global_atomic_smin v4, v5, s[14:15]
.LBB46_39:
	s_or_b64 exec, exec, s[2:3]
	v_xor_b32_e32 v4, 0x80000000, v3
	v_cmp_gt_f64_e32 vcc, 0, v[2:3]
	v_cndmask_b32_e32 v3, v3, v4, vcc
	v_cndmask_b32_e32 v2, v2, v2, vcc
	v_xor_b32_e32 v4, 0x80000000, v7
	v_cmp_gt_f64_e32 vcc, 0, v[6:7]
	v_cndmask_b32_e32 v5, v7, v4, vcc
	v_cndmask_b32_e32 v4, v6, v6, vcc
	v_cmp_ngt_f64_e32 vcc, v[2:3], v[4:5]
                                        ; implicit-def: $vgpr10_vgpr11
	s_and_saveexec_b64 s[2:3], vcc
	s_xor_b64 s[2:3], exec, s[2:3]
	s_cbranch_execz .LBB46_43
; %bb.40:
	v_cmp_neq_f64_e32 vcc, 0, v[6:7]
	v_pk_mov_b32 v[10:11], 0, 0
	s_and_saveexec_b64 s[4:5], vcc
	s_cbranch_execz .LBB46_42
; %bb.41:
	v_div_scale_f64 v[6:7], s[10:11], v[4:5], v[4:5], v[2:3]
	v_rcp_f64_e32 v[10:11], v[6:7]
	v_div_scale_f64 v[14:15], vcc, v[2:3], v[4:5], v[2:3]
	s_mov_b32 s10, 0
	v_fma_f64 v[16:17], -v[6:7], v[10:11], 1.0
	v_fmac_f64_e32 v[10:11], v[10:11], v[16:17]
	v_fma_f64 v[16:17], -v[6:7], v[10:11], 1.0
	v_fmac_f64_e32 v[10:11], v[10:11], v[16:17]
	v_mul_f64 v[16:17], v[14:15], v[10:11]
	v_fma_f64 v[6:7], -v[6:7], v[16:17], v[14:15]
	v_div_fmas_f64 v[6:7], v[6:7], v[10:11], v[16:17]
	v_div_fixup_f64 v[2:3], v[6:7], v[4:5], v[2:3]
	v_fma_f64 v[2:3], v[2:3], v[2:3], 1.0
	s_brev_b32 s11, 8
	v_cmp_gt_f64_e32 vcc, s[10:11], v[2:3]
	v_cndmask_b32_e64 v6, 0, 1, vcc
	v_lshlrev_b32_e32 v6, 8, v6
	v_ldexp_f64 v[2:3], v[2:3], v6
	v_rsq_f64_e32 v[6:7], v[2:3]
	v_mul_f64 v[10:11], v[2:3], v[6:7]
	v_mul_f64 v[6:7], v[6:7], 0.5
	v_fma_f64 v[14:15], -v[6:7], v[10:11], 0.5
	v_fmac_f64_e32 v[10:11], v[10:11], v[14:15]
	v_fma_f64 v[16:17], -v[10:11], v[10:11], v[2:3]
	v_fmac_f64_e32 v[6:7], v[6:7], v[14:15]
	v_fmac_f64_e32 v[10:11], v[16:17], v[6:7]
	v_fma_f64 v[14:15], -v[10:11], v[10:11], v[2:3]
	v_fmac_f64_e32 v[10:11], v[14:15], v[6:7]
	v_mov_b32_e32 v6, 0xffffff80
	v_cndmask_b32_e32 v6, 0, v6, vcc
	v_ldexp_f64 v[6:7], v[10:11], v6
	v_mov_b32_e32 v10, 0x260
	v_cmp_class_f64_e32 vcc, v[2:3], v10
	v_cndmask_b32_e32 v3, v7, v3, vcc
	v_cndmask_b32_e32 v2, v6, v2, vcc
	v_mul_f64 v[10:11], v[4:5], v[2:3]
.LBB46_42:
	s_or_b64 exec, exec, s[4:5]
                                        ; implicit-def: $vgpr2_vgpr3
                                        ; implicit-def: $vgpr4_vgpr5
.LBB46_43:
	s_andn2_saveexec_b64 s[2:3], s[2:3]
	s_cbranch_execz .LBB46_45
; %bb.44:
	v_div_scale_f64 v[6:7], s[4:5], v[2:3], v[2:3], v[4:5]
	v_rcp_f64_e32 v[10:11], v[6:7]
	v_div_scale_f64 v[14:15], vcc, v[4:5], v[2:3], v[4:5]
	s_mov_b32 s4, 0
	v_fma_f64 v[16:17], -v[6:7], v[10:11], 1.0
	v_fmac_f64_e32 v[10:11], v[10:11], v[16:17]
	v_fma_f64 v[16:17], -v[6:7], v[10:11], 1.0
	v_fmac_f64_e32 v[10:11], v[10:11], v[16:17]
	v_mul_f64 v[16:17], v[14:15], v[10:11]
	v_fma_f64 v[6:7], -v[6:7], v[16:17], v[14:15]
	v_div_fmas_f64 v[6:7], v[6:7], v[10:11], v[16:17]
	v_div_fixup_f64 v[4:5], v[6:7], v[2:3], v[4:5]
	v_fma_f64 v[4:5], v[4:5], v[4:5], 1.0
	s_brev_b32 s5, 8
	v_cmp_gt_f64_e32 vcc, s[4:5], v[4:5]
	v_cndmask_b32_e64 v6, 0, 1, vcc
	v_lshlrev_b32_e32 v6, 8, v6
	v_ldexp_f64 v[4:5], v[4:5], v6
	v_rsq_f64_e32 v[6:7], v[4:5]
	v_mul_f64 v[10:11], v[4:5], v[6:7]
	v_mul_f64 v[6:7], v[6:7], 0.5
	v_fma_f64 v[14:15], -v[6:7], v[10:11], 0.5
	v_fmac_f64_e32 v[10:11], v[10:11], v[14:15]
	v_fma_f64 v[16:17], -v[10:11], v[10:11], v[4:5]
	v_fmac_f64_e32 v[6:7], v[6:7], v[14:15]
	v_fmac_f64_e32 v[10:11], v[16:17], v[6:7]
	v_fma_f64 v[14:15], -v[10:11], v[10:11], v[4:5]
	v_fmac_f64_e32 v[10:11], v[14:15], v[6:7]
	v_mov_b32_e32 v6, 0xffffff80
	v_cndmask_b32_e32 v6, 0, v6, vcc
	v_ldexp_f64 v[6:7], v[10:11], v6
	v_mov_b32_e32 v10, 0x260
	v_cmp_class_f64_e32 vcc, v[4:5], v10
	v_cndmask_b32_e32 v5, v7, v5, vcc
	v_cndmask_b32_e32 v4, v6, v4, vcc
	v_mul_f64 v[10:11], v[2:3], v[4:5]
.LBB46_45:
	s_or_b64 exec, exec, s[2:3]
	s_mov_b32 s2, 0
	s_brev_b32 s3, 8
	v_cmp_gt_f64_e32 vcc, s[2:3], v[10:11]
	v_cndmask_b32_e64 v2, 0, 1, vcc
	v_lshlrev_b32_e32 v2, 8, v2
	v_ldexp_f64 v[2:3], v[10:11], v2
	v_rsq_f64_e32 v[4:5], v[2:3]
	v_mul_f64 v[6:7], v[2:3], v[4:5]
	v_mul_f64 v[4:5], v[4:5], 0.5
	v_fma_f64 v[10:11], -v[4:5], v[6:7], 0.5
	v_fmac_f64_e32 v[6:7], v[6:7], v[10:11]
	v_fma_f64 v[14:15], -v[6:7], v[6:7], v[2:3]
	v_fmac_f64_e32 v[4:5], v[4:5], v[10:11]
	v_fmac_f64_e32 v[6:7], v[14:15], v[4:5]
	v_fma_f64 v[10:11], -v[6:7], v[6:7], v[2:3]
	v_fmac_f64_e32 v[6:7], v[10:11], v[4:5]
	v_mov_b32_e32 v5, 0xffffff80
	v_cndmask_b32_e32 v5, 0, v5, vcc
	v_ldexp_f64 v[6:7], v[6:7], v5
	v_mov_b32_e32 v5, 0x260
	v_cmp_class_f64_e32 vcc, v[2:3], v5
	v_mov_b32_e32 v4, 0
	v_cndmask_b32_e32 v3, v7, v3, vcc
	v_cndmask_b32_e32 v2, v6, v2, vcc
	v_mov_b32_e32 v5, v4
	v_cmp_eq_f64_e32 vcc, 0, v[2:3]
	global_store_dwordx4 v[0:1], v[2:5], off
	s_and_b64 exec, exec, vcc
	s_cbranch_execz .LBB46_50
; %bb.46:
	s_mov_b64 s[2:3], exec
	s_brev_b32 s4, -2
.LBB46_47:                              ; =>This Inner Loop Header: Depth=1
	s_ff1_i32_b64 s5, s[2:3]
	v_readlane_b32 s14, v12, s5
	s_lshl_b64 s[10:11], 1, s5
	s_min_i32 s4, s4, s14
	s_andn2_b64 s[2:3], s[2:3], s[10:11]
	s_cmp_lg_u64 s[2:3], 0
	s_cbranch_scc1 .LBB46_47
; %bb.48:
	v_mbcnt_lo_u32_b32 v0, exec_lo, 0
	v_mbcnt_hi_u32_b32 v0, exec_hi, v0
	v_cmp_eq_u32_e32 vcc, 0, v0
	s_and_saveexec_b64 s[2:3], vcc
	s_xor_b64 s[2:3], exec, s[2:3]
	s_cbranch_execz .LBB46_50
; %bb.49:
	v_mov_b32_e32 v0, 0
	v_mov_b32_e32 v1, s4
	global_atomic_smin v0, v1, s[12:13]
.LBB46_50:
	s_or_b64 exec, exec, s[6:7]
	s_and_b64 exec, exec, s[0:1]
	s_cbranch_execz .LBB46_52
; %bb.51:
	v_mov_b32_e32 v1, s9
	v_add_co_u32_e32 v0, vcc, s8, v8
	v_addc_co_u32_e32 v1, vcc, v1, v9, vcc
	v_mov_b32_e32 v2, 1
	s_waitcnt vmcnt(0)
	global_store_dword v[0:1], v2, off
.LBB46_52:
	s_endpgm
	.section	.rodata,"a",@progbits
	.p2align	6, 0x0
	.amdhsa_kernel _ZN9rocsparseL18csric0_hash_kernelILj256ELj64ELj1E21rocsparse_complex_numIdEEEviPKiS4_PT2_S4_PiS4_S7_S7_d21rocsparse_index_base_
		.amdhsa_group_segment_fixed_size 2048
		.amdhsa_private_segment_fixed_size 0
		.amdhsa_kernarg_size 84
		.amdhsa_user_sgpr_count 6
		.amdhsa_user_sgpr_private_segment_buffer 1
		.amdhsa_user_sgpr_dispatch_ptr 0
		.amdhsa_user_sgpr_queue_ptr 0
		.amdhsa_user_sgpr_kernarg_segment_ptr 1
		.amdhsa_user_sgpr_dispatch_id 0
		.amdhsa_user_sgpr_flat_scratch_init 0
		.amdhsa_user_sgpr_kernarg_preload_length 0
		.amdhsa_user_sgpr_kernarg_preload_offset 0
		.amdhsa_user_sgpr_private_segment_size 0
		.amdhsa_uses_dynamic_stack 0
		.amdhsa_system_sgpr_private_segment_wavefront_offset 0
		.amdhsa_system_sgpr_workgroup_id_x 1
		.amdhsa_system_sgpr_workgroup_id_y 0
		.amdhsa_system_sgpr_workgroup_id_z 0
		.amdhsa_system_sgpr_workgroup_info 0
		.amdhsa_system_vgpr_workitem_id 0
		.amdhsa_next_free_vgpr 50
		.amdhsa_next_free_sgpr 44
		.amdhsa_accum_offset 52
		.amdhsa_reserve_vcc 1
		.amdhsa_reserve_flat_scratch 0
		.amdhsa_float_round_mode_32 0
		.amdhsa_float_round_mode_16_64 0
		.amdhsa_float_denorm_mode_32 3
		.amdhsa_float_denorm_mode_16_64 3
		.amdhsa_dx10_clamp 1
		.amdhsa_ieee_mode 1
		.amdhsa_fp16_overflow 0
		.amdhsa_tg_split 0
		.amdhsa_exception_fp_ieee_invalid_op 0
		.amdhsa_exception_fp_denorm_src 0
		.amdhsa_exception_fp_ieee_div_zero 0
		.amdhsa_exception_fp_ieee_overflow 0
		.amdhsa_exception_fp_ieee_underflow 0
		.amdhsa_exception_fp_ieee_inexact 0
		.amdhsa_exception_int_div_zero 0
	.end_amdhsa_kernel
	.section	.text._ZN9rocsparseL18csric0_hash_kernelILj256ELj64ELj1E21rocsparse_complex_numIdEEEviPKiS4_PT2_S4_PiS4_S7_S7_d21rocsparse_index_base_,"axG",@progbits,_ZN9rocsparseL18csric0_hash_kernelILj256ELj64ELj1E21rocsparse_complex_numIdEEEviPKiS4_PT2_S4_PiS4_S7_S7_d21rocsparse_index_base_,comdat
.Lfunc_end46:
	.size	_ZN9rocsparseL18csric0_hash_kernelILj256ELj64ELj1E21rocsparse_complex_numIdEEEviPKiS4_PT2_S4_PiS4_S7_S7_d21rocsparse_index_base_, .Lfunc_end46-_ZN9rocsparseL18csric0_hash_kernelILj256ELj64ELj1E21rocsparse_complex_numIdEEEviPKiS4_PT2_S4_PiS4_S7_S7_d21rocsparse_index_base_
                                        ; -- End function
	.section	.AMDGPU.csdata,"",@progbits
; Kernel info:
; codeLenInByte = 2836
; NumSgprs: 48
; NumVgprs: 50
; NumAgprs: 0
; TotalNumVgprs: 50
; ScratchSize: 0
; MemoryBound: 0
; FloatMode: 240
; IeeeMode: 1
; LDSByteSize: 2048 bytes/workgroup (compile time only)
; SGPRBlocks: 5
; VGPRBlocks: 6
; NumSGPRsForWavesPerEU: 48
; NumVGPRsForWavesPerEU: 50
; AccumOffset: 52
; Occupancy: 8
; WaveLimiterHint : 1
; COMPUTE_PGM_RSRC2:SCRATCH_EN: 0
; COMPUTE_PGM_RSRC2:USER_SGPR: 6
; COMPUTE_PGM_RSRC2:TRAP_HANDLER: 0
; COMPUTE_PGM_RSRC2:TGID_X_EN: 1
; COMPUTE_PGM_RSRC2:TGID_Y_EN: 0
; COMPUTE_PGM_RSRC2:TGID_Z_EN: 0
; COMPUTE_PGM_RSRC2:TIDIG_COMP_CNT: 0
; COMPUTE_PGM_RSRC3_GFX90A:ACCUM_OFFSET: 12
; COMPUTE_PGM_RSRC3_GFX90A:TG_SPLIT: 0
	.section	.text._ZN9rocsparseL18csric0_hash_kernelILj256ELj64ELj2E21rocsparse_complex_numIdEEEviPKiS4_PT2_S4_PiS4_S7_S7_d21rocsparse_index_base_,"axG",@progbits,_ZN9rocsparseL18csric0_hash_kernelILj256ELj64ELj2E21rocsparse_complex_numIdEEEviPKiS4_PT2_S4_PiS4_S7_S7_d21rocsparse_index_base_,comdat
	.globl	_ZN9rocsparseL18csric0_hash_kernelILj256ELj64ELj2E21rocsparse_complex_numIdEEEviPKiS4_PT2_S4_PiS4_S7_S7_d21rocsparse_index_base_ ; -- Begin function _ZN9rocsparseL18csric0_hash_kernelILj256ELj64ELj2E21rocsparse_complex_numIdEEEviPKiS4_PT2_S4_PiS4_S7_S7_d21rocsparse_index_base_
	.p2align	8
	.type	_ZN9rocsparseL18csric0_hash_kernelILj256ELj64ELj2E21rocsparse_complex_numIdEEEviPKiS4_PT2_S4_PiS4_S7_S7_d21rocsparse_index_base_,@function
_ZN9rocsparseL18csric0_hash_kernelILj256ELj64ELj2E21rocsparse_complex_numIdEEEviPKiS4_PT2_S4_PiS4_S7_S7_d21rocsparse_index_base_: ; @_ZN9rocsparseL18csric0_hash_kernelILj256ELj64ELj2E21rocsparse_complex_numIdEEEviPKiS4_PT2_S4_PiS4_S7_S7_d21rocsparse_index_base_
; %bb.0:
	s_load_dword s0, s[4:5], 0x0
	v_lshlrev_b32_e32 v1, 1, v0
	s_lshl_b32 s1, s6, 2
	v_and_b32_e32 v13, 63, v0
	v_and_b32_e32 v1, 0x180, v1
	v_mov_b32_e32 v2, 0x800
	v_lshrrev_b32_e32 v0, 6, v0
	s_and_b32 s1, s1, 0x3fffffc
	v_lshl_or_b32 v30, v1, 2, v2
	v_or_b32_e32 v0, s1, v0
	v_lshl_or_b32 v2, v13, 2, v30
	v_mov_b32_e32 v3, -1
	s_waitcnt lgkmcnt(0)
	v_cmp_gt_i32_e32 vcc, s0, v0
	ds_write2st64_b32 v2, v3, v3 offset1:1
	s_waitcnt lgkmcnt(0)
	s_and_saveexec_b64 s[0:1], vcc
	s_cbranch_execz .LBB47_52
; %bb.1:
	s_load_dwordx8 s[8:15], s[4:5], 0x28
	v_lshlrev_b32_e32 v0, 2, v0
	s_load_dwordx8 s[16:23], s[4:5], 0x8
	s_load_dword s33, s[4:5], 0x50
	s_waitcnt lgkmcnt(0)
	global_load_dword v10, v0, s[10:11]
	v_mov_b32_e32 v3, s17
	v_mov_b32_e32 v0, s23
	s_waitcnt vmcnt(0)
	v_ashrrev_i32_e32 v11, 31, v10
	v_lshlrev_b64 v[8:9], 2, v[10:11]
	v_add_co_u32_e32 v2, vcc, s16, v8
	v_addc_co_u32_e32 v3, vcc, v3, v9, vcc
	global_load_dwordx2 v[2:3], v[2:3], off
	v_add_co_u32_e32 v4, vcc, s22, v8
	v_addc_co_u32_e32 v5, vcc, v0, v9, vcc
	global_load_dword v12, v[4:5], off
	v_lshlrev_b32_e32 v11, 2, v1
	s_waitcnt vmcnt(1)
	v_subrev_u32_e32 v14, s33, v2
	v_subrev_u32_e32 v2, s33, v3
	v_add_u32_e32 v0, v14, v13
	v_cmp_lt_i32_e32 vcc, v0, v2
	s_and_saveexec_b64 s[0:1], vcc
	s_cbranch_execz .LBB47_11
; %bb.2:
	s_mov_b64 s[2:3], 0
	v_mov_b32_e32 v3, s19
	s_movk_i32 s34, 0x67
	v_mov_b32_e32 v4, -1
	s_branch .LBB47_4
.LBB47_3:                               ;   in Loop: Header=BB47_4 Depth=1
	s_or_b64 exec, exec, s[6:7]
	v_add_u32_e32 v0, 64, v0
	v_cmp_ge_i32_e32 vcc, v0, v2
	s_or_b64 s[2:3], vcc, s[2:3]
	s_andn2_b64 exec, exec, s[2:3]
	s_cbranch_execz .LBB47_11
.LBB47_4:                               ; =>This Loop Header: Depth=1
                                        ;     Child Loop BB47_7 Depth 2
	v_ashrrev_i32_e32 v1, 31, v0
	v_lshlrev_b64 v[6:7], 2, v[0:1]
	v_add_co_u32_e32 v6, vcc, s18, v6
	v_addc_co_u32_e32 v7, vcc, v3, v7, vcc
	global_load_dword v1, v[6:7], off
	s_waitcnt vmcnt(0)
	v_mul_lo_u32 v5, v1, s34
	v_and_b32_e32 v5, 0x7f, v5
	v_lshl_add_u32 v6, v5, 2, v30
	ds_read_b32 v7, v6
	s_waitcnt lgkmcnt(0)
	v_cmp_ne_u32_e32 vcc, v7, v1
	s_and_saveexec_b64 s[6:7], vcc
	s_cbranch_execz .LBB47_3
; %bb.5:                                ;   in Loop: Header=BB47_4 Depth=1
	s_mov_b64 s[10:11], 0
                                        ; implicit-def: $sgpr24_sgpr25
                                        ; implicit-def: $sgpr28_sgpr29
                                        ; implicit-def: $sgpr26_sgpr27
	s_branch .LBB47_7
.LBB47_6:                               ;   in Loop: Header=BB47_7 Depth=2
	s_or_b64 exec, exec, s[30:31]
	s_and_b64 s[30:31], exec, s[28:29]
	s_or_b64 s[10:11], s[30:31], s[10:11]
	s_andn2_b64 s[24:25], s[24:25], exec
	s_and_b64 s[30:31], s[26:27], exec
	s_or_b64 s[24:25], s[24:25], s[30:31]
	s_andn2_b64 exec, exec, s[10:11]
	s_cbranch_execz .LBB47_9
.LBB47_7:                               ;   Parent Loop BB47_4 Depth=1
                                        ; =>  This Inner Loop Header: Depth=2
	ds_cmpst_rtn_b32 v6, v6, v4, v1
	v_mov_b32_e32 v7, v5
	s_or_b64 s[26:27], s[26:27], exec
	s_or_b64 s[28:29], s[28:29], exec
                                        ; implicit-def: $vgpr5
	s_waitcnt lgkmcnt(0)
	v_cmp_ne_u32_e32 vcc, -1, v6
                                        ; implicit-def: $vgpr6
	s_and_saveexec_b64 s[30:31], vcc
	s_cbranch_execz .LBB47_6
; %bb.8:                                ;   in Loop: Header=BB47_7 Depth=2
	v_add_u32_e32 v5, 1, v7
	v_and_b32_e32 v5, 0x7f, v5
	v_lshl_add_u32 v6, v5, 2, v30
	ds_read_b32 v15, v6
	s_andn2_b64 s[28:29], s[28:29], exec
	s_andn2_b64 s[26:27], s[26:27], exec
	s_waitcnt lgkmcnt(0)
	v_cmp_eq_u32_e32 vcc, v15, v1
	s_and_b64 s[36:37], vcc, exec
	s_or_b64 s[28:29], s[28:29], s[36:37]
	s_branch .LBB47_6
.LBB47_9:                               ;   in Loop: Header=BB47_4 Depth=1
	s_or_b64 exec, exec, s[10:11]
	s_and_saveexec_b64 s[10:11], s[24:25]
	s_xor_b64 s[10:11], exec, s[10:11]
	s_cbranch_execz .LBB47_3
; %bb.10:                               ;   in Loop: Header=BB47_4 Depth=1
	v_lshl_add_u32 v1, v7, 2, v11
	ds_write_b32 v1, v0
	s_branch .LBB47_3
.LBB47_11:
	s_or_b64 exec, exec, s[0:1]
	v_pk_mov_b32 v[16:17], 0, 0
	s_waitcnt vmcnt(0)
	v_cmp_lt_i32_e32 vcc, v14, v12
	s_mov_b64 s[10:11], 0
	v_pk_mov_b32 v[18:19], v[16:17], v[16:17] op_sel:[0,1]
	s_waitcnt lgkmcnt(0)
	s_and_saveexec_b64 s[6:7], vcc
	s_cbranch_execz .LBB47_33
; %bb.12:
	v_pk_mov_b32 v[16:17], 0, 0
	v_add_u32_e32 v31, -1, v12
	v_subrev_u32_e32 v32, s33, v13
	v_cmp_eq_u32_e64 s[0:1], 63, v13
	v_mov_b32_e32 v33, s19
	v_mov_b32_e32 v34, s21
	;; [unrolled: 1-line block ×5, first 2 shown]
	s_movk_i32 s17, 0x67
	v_pk_mov_b32 v[18:19], v[16:17], v[16:17] op_sel:[0,1]
	s_branch .LBB47_15
.LBB47_13:                              ;   in Loop: Header=BB47_15 Depth=1
	s_or_b64 exec, exec, s[24:25]
	v_add_u32_e32 v14, 1, v14
	v_cmp_ge_i32_e32 vcc, v14, v12
	s_orn2_b64 s[24:25], vcc, exec
.LBB47_14:                              ;   in Loop: Header=BB47_15 Depth=1
	s_or_b64 exec, exec, s[2:3]
	s_and_b64 s[2:3], exec, s[24:25]
	s_or_b64 s[10:11], s[2:3], s[10:11]
	s_andn2_b64 exec, exec, s[10:11]
	s_cbranch_execz .LBB47_32
.LBB47_15:                              ; =>This Loop Header: Depth=1
                                        ;     Child Loop BB47_16 Depth 2
                                        ;     Child Loop BB47_22 Depth 2
                                        ;       Child Loop BB47_25 Depth 3
	v_ashrrev_i32_e32 v15, 31, v14
	v_lshlrev_b64 v[0:1], 2, v[14:15]
	v_add_co_u32_e32 v0, vcc, s18, v0
	v_addc_co_u32_e32 v1, vcc, v33, v1, vcc
	global_load_dword v4, v[0:1], off
	v_lshlrev_b64 v[0:1], 4, v[14:15]
	v_add_co_u32_e32 v20, vcc, s20, v0
	v_addc_co_u32_e32 v21, vcc, v34, v1, vcc
	global_load_dwordx4 v[0:3], v[20:21], off
	s_mov_b64 s[2:3], 0
	s_waitcnt vmcnt(1)
	v_subrev_u32_e32 v4, s33, v4
	v_ashrrev_i32_e32 v5, 31, v4
	v_lshlrev_b64 v[4:5], 2, v[4:5]
	v_add_co_u32_e32 v22, vcc, s16, v4
	v_addc_co_u32_e32 v23, vcc, v35, v5, vcc
	v_add_co_u32_e32 v24, vcc, s22, v4
	v_addc_co_u32_e32 v25, vcc, v36, v5, vcc
	global_load_dword v15, v[22:23], off
	global_load_dword v6, v[24:25], off
	v_add_co_u32_e32 v4, vcc, s8, v4
	v_addc_co_u32_e32 v5, vcc, v37, v5, vcc
.LBB47_16:                              ;   Parent Loop BB47_15 Depth=1
                                        ; =>  This Inner Loop Header: Depth=2
	global_load_dword v7, v[4:5], off glc
	s_waitcnt vmcnt(0)
	v_cmp_ne_u32_e32 vcc, 0, v7
	s_or_b64 s[2:3], vcc, s[2:3]
	s_andn2_b64 exec, exec, s[2:3]
	s_cbranch_execnz .LBB47_16
; %bb.17:                               ;   in Loop: Header=BB47_15 Depth=1
	s_or_b64 exec, exec, s[2:3]
	v_cmp_eq_u32_e32 vcc, -1, v6
	v_cndmask_b32_e32 v24, v6, v31, vcc
	v_ashrrev_i32_e32 v25, 31, v24
	v_lshlrev_b64 v[4:5], 4, v[24:25]
	v_add_co_u32_e32 v4, vcc, s20, v4
	v_addc_co_u32_e32 v5, vcc, v34, v5, vcc
	buffer_wbinvl1_vol
	global_load_dwordx4 v[4:7], v[4:5], off
	s_mov_b64 s[24:25], -1
	s_waitcnt vmcnt(0)
	v_cmp_neq_f64_e32 vcc, 0, v[4:5]
	v_cmp_neq_f64_e64 s[2:3], 0, v[6:7]
	s_or_b64 s[26:27], vcc, s[2:3]
	s_and_saveexec_b64 s[2:3], s[26:27]
	s_cbranch_execz .LBB47_14
; %bb.18:                               ;   in Loop: Header=BB47_15 Depth=1
	v_add_u32_e32 v28, v32, v15
	v_pk_mov_b32 v[22:23], 0, 0
	v_cmp_lt_i32_e32 vcc, v28, v24
	v_pk_mov_b32 v[26:27], v[22:23], v[22:23] op_sel:[0,1]
	s_and_saveexec_b64 s[24:25], vcc
	s_cbranch_execz .LBB47_30
; %bb.19:                               ;   in Loop: Header=BB47_15 Depth=1
	v_pk_mov_b32 v[22:23], 0, 0
	s_mov_b64 s[26:27], 0
	v_pk_mov_b32 v[26:27], v[22:23], v[22:23] op_sel:[0,1]
	s_branch .LBB47_22
.LBB47_20:                              ;   in Loop: Header=BB47_22 Depth=2
	s_or_b64 exec, exec, s[30:31]
.LBB47_21:                              ;   in Loop: Header=BB47_22 Depth=2
	s_or_b64 exec, exec, s[28:29]
	v_add_u32_e32 v28, 64, v28
	v_cmp_ge_i32_e32 vcc, v28, v24
	s_or_b64 s[26:27], vcc, s[26:27]
	s_andn2_b64 exec, exec, s[26:27]
	s_cbranch_execz .LBB47_29
.LBB47_22:                              ;   Parent Loop BB47_15 Depth=1
                                        ; =>  This Loop Header: Depth=2
                                        ;       Child Loop BB47_25 Depth 3
	v_ashrrev_i32_e32 v29, 31, v28
	v_lshlrev_b64 v[38:39], 2, v[28:29]
	v_mov_b32_e32 v15, s19
	v_add_co_u32_e32 v38, vcc, s18, v38
	v_addc_co_u32_e32 v39, vcc, v15, v39, vcc
	global_load_dword v15, v[38:39], off
	s_waitcnt vmcnt(0)
	v_mul_lo_u32 v25, v15, s17
	v_and_b32_e32 v39, 0x7f, v25
	v_lshl_add_u32 v25, v39, 2, v30
	ds_read_b32 v38, v25
	s_waitcnt lgkmcnt(0)
	v_cmp_ne_u32_e32 vcc, -1, v38
	s_and_saveexec_b64 s[28:29], vcc
	s_cbranch_execz .LBB47_21
; %bb.23:                               ;   in Loop: Header=BB47_22 Depth=2
	s_mov_b64 s[34:35], 0
                                        ; implicit-def: $sgpr30_sgpr31
                                        ; implicit-def: $sgpr38_sgpr39
                                        ; implicit-def: $sgpr36_sgpr37
	s_branch .LBB47_25
.LBB47_24:                              ;   in Loop: Header=BB47_25 Depth=3
	s_or_b64 exec, exec, s[40:41]
	s_and_b64 s[40:41], exec, s[38:39]
	s_or_b64 s[34:35], s[40:41], s[34:35]
	s_andn2_b64 s[30:31], s[30:31], exec
	s_and_b64 s[40:41], s[36:37], exec
	s_or_b64 s[30:31], s[30:31], s[40:41]
	s_andn2_b64 exec, exec, s[34:35]
	s_cbranch_execz .LBB47_27
.LBB47_25:                              ;   Parent Loop BB47_15 Depth=1
                                        ;     Parent Loop BB47_22 Depth=2
                                        ; =>    This Inner Loop Header: Depth=3
	v_mov_b32_e32 v25, v39
	v_cmp_ne_u32_e32 vcc, v38, v15
	s_or_b64 s[36:37], s[36:37], exec
	s_or_b64 s[38:39], s[38:39], exec
                                        ; implicit-def: $vgpr39
                                        ; implicit-def: $vgpr38
	s_and_saveexec_b64 s[40:41], vcc
	s_cbranch_execz .LBB47_24
; %bb.26:                               ;   in Loop: Header=BB47_25 Depth=3
	v_add_u32_e32 v38, 1, v25
	v_and_b32_e32 v39, 0x7f, v38
	v_lshl_add_u32 v38, v39, 2, v30
	ds_read_b32 v38, v38
	s_andn2_b64 s[38:39], s[38:39], exec
	s_andn2_b64 s[36:37], s[36:37], exec
	s_waitcnt lgkmcnt(0)
	v_cmp_eq_u32_e32 vcc, -1, v38
	s_and_b64 s[42:43], vcc, exec
	s_or_b64 s[38:39], s[38:39], s[42:43]
	s_branch .LBB47_24
.LBB47_27:                              ;   in Loop: Header=BB47_22 Depth=2
	s_or_b64 exec, exec, s[34:35]
	s_and_saveexec_b64 s[34:35], s[30:31]
	s_xor_b64 s[30:31], exec, s[34:35]
	s_cbranch_execz .LBB47_20
; %bb.28:                               ;   in Loop: Header=BB47_22 Depth=2
	v_lshl_add_u32 v15, v25, 2, v11
	ds_read_b32 v38, v15
	v_lshlrev_b64 v[40:41], 4, v[28:29]
	v_mov_b32_e32 v15, s21
	v_add_co_u32_e32 v46, vcc, s20, v40
	s_waitcnt lgkmcnt(0)
	v_ashrrev_i32_e32 v39, 31, v38
	v_addc_co_u32_e32 v47, vcc, v15, v41, vcc
	v_lshlrev_b64 v[38:39], 4, v[38:39]
	v_add_co_u32_e32 v48, vcc, s20, v38
	v_addc_co_u32_e32 v49, vcc, v15, v39, vcc
	global_load_dwordx4 v[38:41], v[46:47], off
	global_load_dwordx4 v[42:45], v[48:49], off
	s_waitcnt vmcnt(0)
	v_fmac_f64_e32 v[26:27], v[38:39], v[42:43]
	v_fmac_f64_e32 v[22:23], v[40:41], v[42:43]
	v_fmac_f64_e32 v[26:27], v[40:41], v[44:45]
	v_fma_f64 v[22:23], v[38:39], -v[44:45], v[22:23]
	s_branch .LBB47_20
.LBB47_29:                              ;   in Loop: Header=BB47_15 Depth=1
	s_or_b64 exec, exec, s[26:27]
.LBB47_30:                              ;   in Loop: Header=BB47_15 Depth=1
	s_or_b64 exec, exec, s[24:25]
	v_mov_b32_dpp v24, v26 row_shr:1 row_mask:0xf bank_mask:0xf
	v_mov_b32_dpp v25, v27 row_shr:1 row_mask:0xf bank_mask:0xf
	v_mov_b32_dpp v28, v22 row_shr:1 row_mask:0xf bank_mask:0xf
	v_mov_b32_dpp v29, v23 row_shr:1 row_mask:0xf bank_mask:0xf
	v_add_f64 v[24:25], v[26:27], v[24:25]
	v_add_f64 v[22:23], v[22:23], v[28:29]
	s_nop 0
	v_mov_b32_dpp v26, v24 row_shr:2 row_mask:0xf bank_mask:0xf
	v_mov_b32_dpp v27, v25 row_shr:2 row_mask:0xf bank_mask:0xf
	v_mov_b32_dpp v28, v22 row_shr:2 row_mask:0xf bank_mask:0xf
	v_mov_b32_dpp v29, v23 row_shr:2 row_mask:0xf bank_mask:0xf
	v_add_f64 v[24:25], v[24:25], v[26:27]
	v_add_f64 v[22:23], v[22:23], v[28:29]
	s_nop 0
	;; [unrolled: 7-line block ×4, first 2 shown]
	v_mov_b32_dpp v26, v24 row_bcast:15 row_mask:0xa bank_mask:0xf
	v_mov_b32_dpp v27, v25 row_bcast:15 row_mask:0xa bank_mask:0xf
	;; [unrolled: 1-line block ×4, first 2 shown]
	v_add_f64 v[24:25], v[24:25], v[26:27]
	v_add_f64 v[22:23], v[22:23], v[28:29]
	s_nop 0
	v_mov_b32_dpp v26, v24 row_bcast:31 row_mask:0xc bank_mask:0xf
	v_mov_b32_dpp v27, v25 row_bcast:31 row_mask:0xc bank_mask:0xf
	;; [unrolled: 1-line block ×4, first 2 shown]
	s_and_saveexec_b64 s[24:25], s[0:1]
	s_cbranch_execz .LBB47_13
; %bb.31:                               ;   in Loop: Header=BB47_15 Depth=1
	v_mul_f64 v[38:39], v[6:7], v[6:7]
	v_fmac_f64_e32 v[38:39], v[4:5], v[4:5]
	v_div_scale_f64 v[40:41], s[26:27], v[38:39], v[38:39], 1.0
	v_rcp_f64_e32 v[42:43], v[40:41]
	v_div_scale_f64 v[44:45], vcc, 1.0, v[38:39], 1.0
	v_fma_f64 v[46:47], -v[40:41], v[42:43], 1.0
	v_fmac_f64_e32 v[42:43], v[42:43], v[46:47]
	v_fma_f64 v[46:47], -v[40:41], v[42:43], 1.0
	v_fmac_f64_e32 v[42:43], v[42:43], v[46:47]
	v_mul_f64 v[46:47], v[44:45], v[42:43]
	v_fma_f64 v[40:41], -v[40:41], v[46:47], v[44:45]
	v_div_fmas_f64 v[40:41], v[40:41], v[42:43], v[46:47]
	v_div_fixup_f64 v[38:39], v[40:41], v[38:39], 1.0
	v_fma_f64 v[40:41], 0, v[6:7], v[4:5]
	v_fma_f64 v[4:5], v[4:5], 0, -v[6:7]
	v_add_f64 v[6:7], v[22:23], v[28:29]
	v_add_f64 v[22:23], v[24:25], v[26:27]
	v_mul_f64 v[4:5], v[4:5], v[38:39]
	v_add_f64 v[22:23], v[0:1], -v[22:23]
	v_add_f64 v[6:7], v[2:3], -v[6:7]
	v_mul_f64 v[40:41], v[40:41], v[38:39]
	v_mul_f64 v[0:1], v[4:5], -v[6:7]
	v_mul_f64 v[2:3], v[4:5], v[22:23]
	v_fmac_f64_e32 v[0:1], v[22:23], v[40:41]
	v_fmac_f64_e32 v[2:3], v[6:7], v[40:41]
	;; [unrolled: 1-line block ×5, first 2 shown]
	v_fma_f64 v[16:17], v[0:1], -v[2:3], v[16:17]
	global_store_dwordx4 v[20:21], v[0:3], off
	s_branch .LBB47_13
.LBB47_32:
	s_or_b64 exec, exec, s[10:11]
.LBB47_33:
	s_or_b64 exec, exec, s[6:7]
	v_cmp_eq_u32_e64 s[0:1], 63, v13
	v_cmp_lt_i32_e32 vcc, -1, v12
	s_and_b64 s[2:3], s[0:1], vcc
	s_and_saveexec_b64 s[6:7], s[2:3]
	s_cbranch_execz .LBB47_50
; %bb.34:
	v_mov_b32_e32 v13, 0
	v_lshlrev_b64 v[0:1], 4, v[12:13]
	v_mov_b32_e32 v2, s21
	v_add_co_u32_e32 v0, vcc, s20, v0
	v_addc_co_u32_e32 v1, vcc, v2, v1, vcc
	global_load_dwordx4 v[2:5], v[0:1], off
	s_load_dwordx2 s[2:3], s[4:5], 0x48
	s_waitcnt lgkmcnt(0)
	v_mul_f64 v[12:13], s[2:3], s[2:3]
	s_waitcnt vmcnt(0)
	v_add_f64 v[2:3], v[2:3], -v[18:19]
	v_add_f64 v[6:7], v[4:5], -v[16:17]
	v_cmp_le_f64_e32 vcc, v[2:3], v[12:13]
	v_cmp_eq_f64_e64 s[2:3], 0, v[6:7]
	s_and_b64 s[4:5], vcc, s[2:3]
	v_add_u32_e32 v12, s33, v10
	s_and_saveexec_b64 s[2:3], s[4:5]
	s_cbranch_execz .LBB47_39
; %bb.35:
	s_mov_b64 s[4:5], exec
	s_brev_b32 s10, -2
.LBB47_36:                              ; =>This Inner Loop Header: Depth=1
	s_ff1_i32_b64 s11, s[4:5]
	v_readlane_b32 s18, v12, s11
	s_lshl_b64 s[16:17], 1, s11
	s_min_i32 s10, s10, s18
	s_andn2_b64 s[4:5], s[4:5], s[16:17]
	s_cmp_lg_u64 s[4:5], 0
	s_cbranch_scc1 .LBB47_36
; %bb.37:
	v_mbcnt_lo_u32_b32 v4, exec_lo, 0
	v_mbcnt_hi_u32_b32 v4, exec_hi, v4
	v_cmp_eq_u32_e32 vcc, 0, v4
	s_and_saveexec_b64 s[4:5], vcc
	s_xor_b64 s[4:5], exec, s[4:5]
	s_cbranch_execz .LBB47_39
; %bb.38:
	v_mov_b32_e32 v4, 0
	v_mov_b32_e32 v5, s10
	global_atomic_smin v4, v5, s[14:15]
.LBB47_39:
	s_or_b64 exec, exec, s[2:3]
	v_xor_b32_e32 v4, 0x80000000, v3
	v_cmp_gt_f64_e32 vcc, 0, v[2:3]
	v_cndmask_b32_e32 v3, v3, v4, vcc
	v_cndmask_b32_e32 v2, v2, v2, vcc
	v_xor_b32_e32 v4, 0x80000000, v7
	v_cmp_gt_f64_e32 vcc, 0, v[6:7]
	v_cndmask_b32_e32 v5, v7, v4, vcc
	v_cndmask_b32_e32 v4, v6, v6, vcc
	v_cmp_ngt_f64_e32 vcc, v[2:3], v[4:5]
                                        ; implicit-def: $vgpr10_vgpr11
	s_and_saveexec_b64 s[2:3], vcc
	s_xor_b64 s[2:3], exec, s[2:3]
	s_cbranch_execz .LBB47_43
; %bb.40:
	v_cmp_neq_f64_e32 vcc, 0, v[6:7]
	v_pk_mov_b32 v[10:11], 0, 0
	s_and_saveexec_b64 s[4:5], vcc
	s_cbranch_execz .LBB47_42
; %bb.41:
	v_div_scale_f64 v[6:7], s[10:11], v[4:5], v[4:5], v[2:3]
	v_rcp_f64_e32 v[10:11], v[6:7]
	v_div_scale_f64 v[14:15], vcc, v[2:3], v[4:5], v[2:3]
	s_mov_b32 s10, 0
	v_fma_f64 v[16:17], -v[6:7], v[10:11], 1.0
	v_fmac_f64_e32 v[10:11], v[10:11], v[16:17]
	v_fma_f64 v[16:17], -v[6:7], v[10:11], 1.0
	v_fmac_f64_e32 v[10:11], v[10:11], v[16:17]
	v_mul_f64 v[16:17], v[14:15], v[10:11]
	v_fma_f64 v[6:7], -v[6:7], v[16:17], v[14:15]
	v_div_fmas_f64 v[6:7], v[6:7], v[10:11], v[16:17]
	v_div_fixup_f64 v[2:3], v[6:7], v[4:5], v[2:3]
	v_fma_f64 v[2:3], v[2:3], v[2:3], 1.0
	s_brev_b32 s11, 8
	v_cmp_gt_f64_e32 vcc, s[10:11], v[2:3]
	v_cndmask_b32_e64 v6, 0, 1, vcc
	v_lshlrev_b32_e32 v6, 8, v6
	v_ldexp_f64 v[2:3], v[2:3], v6
	v_rsq_f64_e32 v[6:7], v[2:3]
	v_mul_f64 v[10:11], v[2:3], v[6:7]
	v_mul_f64 v[6:7], v[6:7], 0.5
	v_fma_f64 v[14:15], -v[6:7], v[10:11], 0.5
	v_fmac_f64_e32 v[10:11], v[10:11], v[14:15]
	v_fma_f64 v[16:17], -v[10:11], v[10:11], v[2:3]
	v_fmac_f64_e32 v[6:7], v[6:7], v[14:15]
	v_fmac_f64_e32 v[10:11], v[16:17], v[6:7]
	v_fma_f64 v[14:15], -v[10:11], v[10:11], v[2:3]
	v_fmac_f64_e32 v[10:11], v[14:15], v[6:7]
	v_mov_b32_e32 v6, 0xffffff80
	v_cndmask_b32_e32 v6, 0, v6, vcc
	v_ldexp_f64 v[6:7], v[10:11], v6
	v_mov_b32_e32 v10, 0x260
	v_cmp_class_f64_e32 vcc, v[2:3], v10
	v_cndmask_b32_e32 v3, v7, v3, vcc
	v_cndmask_b32_e32 v2, v6, v2, vcc
	v_mul_f64 v[10:11], v[4:5], v[2:3]
.LBB47_42:
	s_or_b64 exec, exec, s[4:5]
                                        ; implicit-def: $vgpr2_vgpr3
                                        ; implicit-def: $vgpr4_vgpr5
.LBB47_43:
	s_andn2_saveexec_b64 s[2:3], s[2:3]
	s_cbranch_execz .LBB47_45
; %bb.44:
	v_div_scale_f64 v[6:7], s[4:5], v[2:3], v[2:3], v[4:5]
	v_rcp_f64_e32 v[10:11], v[6:7]
	v_div_scale_f64 v[14:15], vcc, v[4:5], v[2:3], v[4:5]
	s_mov_b32 s4, 0
	v_fma_f64 v[16:17], -v[6:7], v[10:11], 1.0
	v_fmac_f64_e32 v[10:11], v[10:11], v[16:17]
	v_fma_f64 v[16:17], -v[6:7], v[10:11], 1.0
	v_fmac_f64_e32 v[10:11], v[10:11], v[16:17]
	v_mul_f64 v[16:17], v[14:15], v[10:11]
	v_fma_f64 v[6:7], -v[6:7], v[16:17], v[14:15]
	v_div_fmas_f64 v[6:7], v[6:7], v[10:11], v[16:17]
	v_div_fixup_f64 v[4:5], v[6:7], v[2:3], v[4:5]
	v_fma_f64 v[4:5], v[4:5], v[4:5], 1.0
	s_brev_b32 s5, 8
	v_cmp_gt_f64_e32 vcc, s[4:5], v[4:5]
	v_cndmask_b32_e64 v6, 0, 1, vcc
	v_lshlrev_b32_e32 v6, 8, v6
	v_ldexp_f64 v[4:5], v[4:5], v6
	v_rsq_f64_e32 v[6:7], v[4:5]
	v_mul_f64 v[10:11], v[4:5], v[6:7]
	v_mul_f64 v[6:7], v[6:7], 0.5
	v_fma_f64 v[14:15], -v[6:7], v[10:11], 0.5
	v_fmac_f64_e32 v[10:11], v[10:11], v[14:15]
	v_fma_f64 v[16:17], -v[10:11], v[10:11], v[4:5]
	v_fmac_f64_e32 v[6:7], v[6:7], v[14:15]
	v_fmac_f64_e32 v[10:11], v[16:17], v[6:7]
	v_fma_f64 v[14:15], -v[10:11], v[10:11], v[4:5]
	v_fmac_f64_e32 v[10:11], v[14:15], v[6:7]
	v_mov_b32_e32 v6, 0xffffff80
	v_cndmask_b32_e32 v6, 0, v6, vcc
	v_ldexp_f64 v[6:7], v[10:11], v6
	v_mov_b32_e32 v10, 0x260
	v_cmp_class_f64_e32 vcc, v[4:5], v10
	v_cndmask_b32_e32 v5, v7, v5, vcc
	v_cndmask_b32_e32 v4, v6, v4, vcc
	v_mul_f64 v[10:11], v[2:3], v[4:5]
.LBB47_45:
	s_or_b64 exec, exec, s[2:3]
	s_mov_b32 s2, 0
	s_brev_b32 s3, 8
	v_cmp_gt_f64_e32 vcc, s[2:3], v[10:11]
	v_cndmask_b32_e64 v2, 0, 1, vcc
	v_lshlrev_b32_e32 v2, 8, v2
	v_ldexp_f64 v[2:3], v[10:11], v2
	v_rsq_f64_e32 v[4:5], v[2:3]
	v_mul_f64 v[6:7], v[2:3], v[4:5]
	v_mul_f64 v[4:5], v[4:5], 0.5
	v_fma_f64 v[10:11], -v[4:5], v[6:7], 0.5
	v_fmac_f64_e32 v[6:7], v[6:7], v[10:11]
	v_fma_f64 v[14:15], -v[6:7], v[6:7], v[2:3]
	v_fmac_f64_e32 v[4:5], v[4:5], v[10:11]
	v_fmac_f64_e32 v[6:7], v[14:15], v[4:5]
	v_fma_f64 v[10:11], -v[6:7], v[6:7], v[2:3]
	v_fmac_f64_e32 v[6:7], v[10:11], v[4:5]
	v_mov_b32_e32 v5, 0xffffff80
	v_cndmask_b32_e32 v5, 0, v5, vcc
	v_ldexp_f64 v[6:7], v[6:7], v5
	v_mov_b32_e32 v5, 0x260
	v_cmp_class_f64_e32 vcc, v[2:3], v5
	v_mov_b32_e32 v4, 0
	v_cndmask_b32_e32 v3, v7, v3, vcc
	v_cndmask_b32_e32 v2, v6, v2, vcc
	v_mov_b32_e32 v5, v4
	v_cmp_eq_f64_e32 vcc, 0, v[2:3]
	global_store_dwordx4 v[0:1], v[2:5], off
	s_and_b64 exec, exec, vcc
	s_cbranch_execz .LBB47_50
; %bb.46:
	s_mov_b64 s[2:3], exec
	s_brev_b32 s4, -2
.LBB47_47:                              ; =>This Inner Loop Header: Depth=1
	s_ff1_i32_b64 s5, s[2:3]
	v_readlane_b32 s14, v12, s5
	s_lshl_b64 s[10:11], 1, s5
	s_min_i32 s4, s4, s14
	s_andn2_b64 s[2:3], s[2:3], s[10:11]
	s_cmp_lg_u64 s[2:3], 0
	s_cbranch_scc1 .LBB47_47
; %bb.48:
	v_mbcnt_lo_u32_b32 v0, exec_lo, 0
	v_mbcnt_hi_u32_b32 v0, exec_hi, v0
	v_cmp_eq_u32_e32 vcc, 0, v0
	s_and_saveexec_b64 s[2:3], vcc
	s_xor_b64 s[2:3], exec, s[2:3]
	s_cbranch_execz .LBB47_50
; %bb.49:
	v_mov_b32_e32 v0, 0
	v_mov_b32_e32 v1, s4
	global_atomic_smin v0, v1, s[12:13]
.LBB47_50:
	s_or_b64 exec, exec, s[6:7]
	s_and_b64 exec, exec, s[0:1]
	s_cbranch_execz .LBB47_52
; %bb.51:
	v_mov_b32_e32 v1, s9
	v_add_co_u32_e32 v0, vcc, s8, v8
	v_addc_co_u32_e32 v1, vcc, v1, v9, vcc
	v_mov_b32_e32 v2, 1
	s_waitcnt vmcnt(0)
	global_store_dword v[0:1], v2, off
.LBB47_52:
	s_endpgm
	.section	.rodata,"a",@progbits
	.p2align	6, 0x0
	.amdhsa_kernel _ZN9rocsparseL18csric0_hash_kernelILj256ELj64ELj2E21rocsparse_complex_numIdEEEviPKiS4_PT2_S4_PiS4_S7_S7_d21rocsparse_index_base_
		.amdhsa_group_segment_fixed_size 4096
		.amdhsa_private_segment_fixed_size 0
		.amdhsa_kernarg_size 84
		.amdhsa_user_sgpr_count 6
		.amdhsa_user_sgpr_private_segment_buffer 1
		.amdhsa_user_sgpr_dispatch_ptr 0
		.amdhsa_user_sgpr_queue_ptr 0
		.amdhsa_user_sgpr_kernarg_segment_ptr 1
		.amdhsa_user_sgpr_dispatch_id 0
		.amdhsa_user_sgpr_flat_scratch_init 0
		.amdhsa_user_sgpr_kernarg_preload_length 0
		.amdhsa_user_sgpr_kernarg_preload_offset 0
		.amdhsa_user_sgpr_private_segment_size 0
		.amdhsa_uses_dynamic_stack 0
		.amdhsa_system_sgpr_private_segment_wavefront_offset 0
		.amdhsa_system_sgpr_workgroup_id_x 1
		.amdhsa_system_sgpr_workgroup_id_y 0
		.amdhsa_system_sgpr_workgroup_id_z 0
		.amdhsa_system_sgpr_workgroup_info 0
		.amdhsa_system_vgpr_workitem_id 0
		.amdhsa_next_free_vgpr 50
		.amdhsa_next_free_sgpr 44
		.amdhsa_accum_offset 52
		.amdhsa_reserve_vcc 1
		.amdhsa_reserve_flat_scratch 0
		.amdhsa_float_round_mode_32 0
		.amdhsa_float_round_mode_16_64 0
		.amdhsa_float_denorm_mode_32 3
		.amdhsa_float_denorm_mode_16_64 3
		.amdhsa_dx10_clamp 1
		.amdhsa_ieee_mode 1
		.amdhsa_fp16_overflow 0
		.amdhsa_tg_split 0
		.amdhsa_exception_fp_ieee_invalid_op 0
		.amdhsa_exception_fp_denorm_src 0
		.amdhsa_exception_fp_ieee_div_zero 0
		.amdhsa_exception_fp_ieee_overflow 0
		.amdhsa_exception_fp_ieee_underflow 0
		.amdhsa_exception_fp_ieee_inexact 0
		.amdhsa_exception_int_div_zero 0
	.end_amdhsa_kernel
	.section	.text._ZN9rocsparseL18csric0_hash_kernelILj256ELj64ELj2E21rocsparse_complex_numIdEEEviPKiS4_PT2_S4_PiS4_S7_S7_d21rocsparse_index_base_,"axG",@progbits,_ZN9rocsparseL18csric0_hash_kernelILj256ELj64ELj2E21rocsparse_complex_numIdEEEviPKiS4_PT2_S4_PiS4_S7_S7_d21rocsparse_index_base_,comdat
.Lfunc_end47:
	.size	_ZN9rocsparseL18csric0_hash_kernelILj256ELj64ELj2E21rocsparse_complex_numIdEEEviPKiS4_PT2_S4_PiS4_S7_S7_d21rocsparse_index_base_, .Lfunc_end47-_ZN9rocsparseL18csric0_hash_kernelILj256ELj64ELj2E21rocsparse_complex_numIdEEEviPKiS4_PT2_S4_PiS4_S7_S7_d21rocsparse_index_base_
                                        ; -- End function
	.section	.AMDGPU.csdata,"",@progbits
; Kernel info:
; codeLenInByte = 2864
; NumSgprs: 48
; NumVgprs: 50
; NumAgprs: 0
; TotalNumVgprs: 50
; ScratchSize: 0
; MemoryBound: 0
; FloatMode: 240
; IeeeMode: 1
; LDSByteSize: 4096 bytes/workgroup (compile time only)
; SGPRBlocks: 5
; VGPRBlocks: 6
; NumSGPRsForWavesPerEU: 48
; NumVGPRsForWavesPerEU: 50
; AccumOffset: 52
; Occupancy: 8
; WaveLimiterHint : 1
; COMPUTE_PGM_RSRC2:SCRATCH_EN: 0
; COMPUTE_PGM_RSRC2:USER_SGPR: 6
; COMPUTE_PGM_RSRC2:TRAP_HANDLER: 0
; COMPUTE_PGM_RSRC2:TGID_X_EN: 1
; COMPUTE_PGM_RSRC2:TGID_Y_EN: 0
; COMPUTE_PGM_RSRC2:TGID_Z_EN: 0
; COMPUTE_PGM_RSRC2:TIDIG_COMP_CNT: 0
; COMPUTE_PGM_RSRC3_GFX90A:ACCUM_OFFSET: 12
; COMPUTE_PGM_RSRC3_GFX90A:TG_SPLIT: 0
	.section	.text._ZN9rocsparseL18csric0_hash_kernelILj256ELj64ELj4E21rocsparse_complex_numIdEEEviPKiS4_PT2_S4_PiS4_S7_S7_d21rocsparse_index_base_,"axG",@progbits,_ZN9rocsparseL18csric0_hash_kernelILj256ELj64ELj4E21rocsparse_complex_numIdEEEviPKiS4_PT2_S4_PiS4_S7_S7_d21rocsparse_index_base_,comdat
	.globl	_ZN9rocsparseL18csric0_hash_kernelILj256ELj64ELj4E21rocsparse_complex_numIdEEEviPKiS4_PT2_S4_PiS4_S7_S7_d21rocsparse_index_base_ ; -- Begin function _ZN9rocsparseL18csric0_hash_kernelILj256ELj64ELj4E21rocsparse_complex_numIdEEEviPKiS4_PT2_S4_PiS4_S7_S7_d21rocsparse_index_base_
	.p2align	8
	.type	_ZN9rocsparseL18csric0_hash_kernelILj256ELj64ELj4E21rocsparse_complex_numIdEEEviPKiS4_PT2_S4_PiS4_S7_S7_d21rocsparse_index_base_,@function
_ZN9rocsparseL18csric0_hash_kernelILj256ELj64ELj4E21rocsparse_complex_numIdEEEviPKiS4_PT2_S4_PiS4_S7_S7_d21rocsparse_index_base_: ; @_ZN9rocsparseL18csric0_hash_kernelILj256ELj64ELj4E21rocsparse_complex_numIdEEEviPKiS4_PT2_S4_PiS4_S7_S7_d21rocsparse_index_base_
; %bb.0:
	s_load_dword s0, s[4:5], 0x0
	v_lshlrev_b32_e32 v1, 2, v0
	s_lshl_b32 s1, s6, 2
	v_and_b32_e32 v13, 63, v0
	v_and_b32_e32 v1, 0x300, v1
	v_mov_b32_e32 v2, 0x1000
	v_lshrrev_b32_e32 v0, 6, v0
	s_and_b32 s1, s1, 0x3fffffc
	v_lshl_or_b32 v30, v1, 2, v2
	v_or_b32_e32 v0, s1, v0
	v_lshl_or_b32 v2, v13, 2, v30
	v_mov_b32_e32 v3, -1
	s_waitcnt lgkmcnt(0)
	v_cmp_gt_i32_e32 vcc, s0, v0
	ds_write2st64_b32 v2, v3, v3 offset1:1
	ds_write2st64_b32 v2, v3, v3 offset0:2 offset1:3
	s_waitcnt lgkmcnt(0)
	s_and_saveexec_b64 s[0:1], vcc
	s_cbranch_execz .LBB48_52
; %bb.1:
	s_load_dwordx8 s[8:15], s[4:5], 0x28
	v_lshlrev_b32_e32 v0, 2, v0
	s_load_dwordx8 s[16:23], s[4:5], 0x8
	s_load_dword s33, s[4:5], 0x50
	s_waitcnt lgkmcnt(0)
	global_load_dword v10, v0, s[10:11]
	v_mov_b32_e32 v3, s17
	v_mov_b32_e32 v0, s23
	s_waitcnt vmcnt(0)
	v_ashrrev_i32_e32 v11, 31, v10
	v_lshlrev_b64 v[8:9], 2, v[10:11]
	v_add_co_u32_e32 v2, vcc, s16, v8
	v_addc_co_u32_e32 v3, vcc, v3, v9, vcc
	global_load_dwordx2 v[2:3], v[2:3], off
	v_add_co_u32_e32 v4, vcc, s22, v8
	v_addc_co_u32_e32 v5, vcc, v0, v9, vcc
	global_load_dword v12, v[4:5], off
	v_lshlrev_b32_e32 v11, 2, v1
	s_waitcnt vmcnt(1)
	v_subrev_u32_e32 v14, s33, v2
	v_subrev_u32_e32 v2, s33, v3
	v_add_u32_e32 v0, v14, v13
	v_cmp_lt_i32_e32 vcc, v0, v2
	s_and_saveexec_b64 s[0:1], vcc
	s_cbranch_execz .LBB48_11
; %bb.2:
	s_mov_b64 s[2:3], 0
	v_mov_b32_e32 v3, s19
	s_movk_i32 s34, 0x67
	v_mov_b32_e32 v4, -1
	s_branch .LBB48_4
.LBB48_3:                               ;   in Loop: Header=BB48_4 Depth=1
	s_or_b64 exec, exec, s[6:7]
	v_add_u32_e32 v0, 64, v0
	v_cmp_ge_i32_e32 vcc, v0, v2
	s_or_b64 s[2:3], vcc, s[2:3]
	s_andn2_b64 exec, exec, s[2:3]
	s_cbranch_execz .LBB48_11
.LBB48_4:                               ; =>This Loop Header: Depth=1
                                        ;     Child Loop BB48_7 Depth 2
	v_ashrrev_i32_e32 v1, 31, v0
	v_lshlrev_b64 v[6:7], 2, v[0:1]
	v_add_co_u32_e32 v6, vcc, s18, v6
	v_addc_co_u32_e32 v7, vcc, v3, v7, vcc
	global_load_dword v1, v[6:7], off
	s_waitcnt vmcnt(0)
	v_mul_lo_u32 v5, v1, s34
	v_and_b32_e32 v5, 0xff, v5
	v_lshl_add_u32 v6, v5, 2, v30
	ds_read_b32 v7, v6
	s_waitcnt lgkmcnt(0)
	v_cmp_ne_u32_e32 vcc, v7, v1
	s_and_saveexec_b64 s[6:7], vcc
	s_cbranch_execz .LBB48_3
; %bb.5:                                ;   in Loop: Header=BB48_4 Depth=1
	s_mov_b64 s[10:11], 0
                                        ; implicit-def: $sgpr24_sgpr25
                                        ; implicit-def: $sgpr28_sgpr29
                                        ; implicit-def: $sgpr26_sgpr27
	s_branch .LBB48_7
.LBB48_6:                               ;   in Loop: Header=BB48_7 Depth=2
	s_or_b64 exec, exec, s[30:31]
	s_and_b64 s[30:31], exec, s[28:29]
	s_or_b64 s[10:11], s[30:31], s[10:11]
	s_andn2_b64 s[24:25], s[24:25], exec
	s_and_b64 s[30:31], s[26:27], exec
	s_or_b64 s[24:25], s[24:25], s[30:31]
	s_andn2_b64 exec, exec, s[10:11]
	s_cbranch_execz .LBB48_9
.LBB48_7:                               ;   Parent Loop BB48_4 Depth=1
                                        ; =>  This Inner Loop Header: Depth=2
	ds_cmpst_rtn_b32 v6, v6, v4, v1
	v_mov_b32_e32 v7, v5
	s_or_b64 s[26:27], s[26:27], exec
	s_or_b64 s[28:29], s[28:29], exec
                                        ; implicit-def: $vgpr5
	s_waitcnt lgkmcnt(0)
	v_cmp_ne_u32_e32 vcc, -1, v6
                                        ; implicit-def: $vgpr6
	s_and_saveexec_b64 s[30:31], vcc
	s_cbranch_execz .LBB48_6
; %bb.8:                                ;   in Loop: Header=BB48_7 Depth=2
	v_add_u32_e32 v5, 1, v7
	v_and_b32_e32 v5, 0xff, v5
	v_lshl_add_u32 v6, v5, 2, v30
	ds_read_b32 v15, v6
	s_andn2_b64 s[28:29], s[28:29], exec
	s_andn2_b64 s[26:27], s[26:27], exec
	s_waitcnt lgkmcnt(0)
	v_cmp_eq_u32_e32 vcc, v15, v1
	s_and_b64 s[36:37], vcc, exec
	s_or_b64 s[28:29], s[28:29], s[36:37]
	s_branch .LBB48_6
.LBB48_9:                               ;   in Loop: Header=BB48_4 Depth=1
	s_or_b64 exec, exec, s[10:11]
	s_and_saveexec_b64 s[10:11], s[24:25]
	s_xor_b64 s[10:11], exec, s[10:11]
	s_cbranch_execz .LBB48_3
; %bb.10:                               ;   in Loop: Header=BB48_4 Depth=1
	v_lshl_add_u32 v1, v7, 2, v11
	ds_write_b32 v1, v0
	s_branch .LBB48_3
.LBB48_11:
	s_or_b64 exec, exec, s[0:1]
	v_pk_mov_b32 v[16:17], 0, 0
	s_waitcnt vmcnt(0)
	v_cmp_lt_i32_e32 vcc, v14, v12
	s_mov_b64 s[10:11], 0
	v_pk_mov_b32 v[18:19], v[16:17], v[16:17] op_sel:[0,1]
	s_waitcnt lgkmcnt(0)
	s_and_saveexec_b64 s[6:7], vcc
	s_cbranch_execz .LBB48_33
; %bb.12:
	v_pk_mov_b32 v[16:17], 0, 0
	v_add_u32_e32 v31, -1, v12
	v_subrev_u32_e32 v32, s33, v13
	v_cmp_eq_u32_e64 s[0:1], 63, v13
	v_mov_b32_e32 v33, s19
	v_mov_b32_e32 v34, s21
	;; [unrolled: 1-line block ×5, first 2 shown]
	s_movk_i32 s17, 0x67
	v_pk_mov_b32 v[18:19], v[16:17], v[16:17] op_sel:[0,1]
	s_branch .LBB48_15
.LBB48_13:                              ;   in Loop: Header=BB48_15 Depth=1
	s_or_b64 exec, exec, s[24:25]
	v_add_u32_e32 v14, 1, v14
	v_cmp_ge_i32_e32 vcc, v14, v12
	s_orn2_b64 s[24:25], vcc, exec
.LBB48_14:                              ;   in Loop: Header=BB48_15 Depth=1
	s_or_b64 exec, exec, s[2:3]
	s_and_b64 s[2:3], exec, s[24:25]
	s_or_b64 s[10:11], s[2:3], s[10:11]
	s_andn2_b64 exec, exec, s[10:11]
	s_cbranch_execz .LBB48_32
.LBB48_15:                              ; =>This Loop Header: Depth=1
                                        ;     Child Loop BB48_16 Depth 2
                                        ;     Child Loop BB48_22 Depth 2
                                        ;       Child Loop BB48_25 Depth 3
	v_ashrrev_i32_e32 v15, 31, v14
	v_lshlrev_b64 v[0:1], 2, v[14:15]
	v_add_co_u32_e32 v0, vcc, s18, v0
	v_addc_co_u32_e32 v1, vcc, v33, v1, vcc
	global_load_dword v4, v[0:1], off
	v_lshlrev_b64 v[0:1], 4, v[14:15]
	v_add_co_u32_e32 v20, vcc, s20, v0
	v_addc_co_u32_e32 v21, vcc, v34, v1, vcc
	global_load_dwordx4 v[0:3], v[20:21], off
	s_mov_b64 s[2:3], 0
	s_waitcnt vmcnt(1)
	v_subrev_u32_e32 v4, s33, v4
	v_ashrrev_i32_e32 v5, 31, v4
	v_lshlrev_b64 v[4:5], 2, v[4:5]
	v_add_co_u32_e32 v22, vcc, s16, v4
	v_addc_co_u32_e32 v23, vcc, v35, v5, vcc
	v_add_co_u32_e32 v24, vcc, s22, v4
	v_addc_co_u32_e32 v25, vcc, v36, v5, vcc
	global_load_dword v15, v[22:23], off
	global_load_dword v6, v[24:25], off
	v_add_co_u32_e32 v4, vcc, s8, v4
	v_addc_co_u32_e32 v5, vcc, v37, v5, vcc
.LBB48_16:                              ;   Parent Loop BB48_15 Depth=1
                                        ; =>  This Inner Loop Header: Depth=2
	global_load_dword v7, v[4:5], off glc
	s_waitcnt vmcnt(0)
	v_cmp_ne_u32_e32 vcc, 0, v7
	s_or_b64 s[2:3], vcc, s[2:3]
	s_andn2_b64 exec, exec, s[2:3]
	s_cbranch_execnz .LBB48_16
; %bb.17:                               ;   in Loop: Header=BB48_15 Depth=1
	s_or_b64 exec, exec, s[2:3]
	v_cmp_eq_u32_e32 vcc, -1, v6
	v_cndmask_b32_e32 v24, v6, v31, vcc
	v_ashrrev_i32_e32 v25, 31, v24
	v_lshlrev_b64 v[4:5], 4, v[24:25]
	v_add_co_u32_e32 v4, vcc, s20, v4
	v_addc_co_u32_e32 v5, vcc, v34, v5, vcc
	buffer_wbinvl1_vol
	global_load_dwordx4 v[4:7], v[4:5], off
	s_mov_b64 s[24:25], -1
	s_waitcnt vmcnt(0)
	v_cmp_neq_f64_e32 vcc, 0, v[4:5]
	v_cmp_neq_f64_e64 s[2:3], 0, v[6:7]
	s_or_b64 s[26:27], vcc, s[2:3]
	s_and_saveexec_b64 s[2:3], s[26:27]
	s_cbranch_execz .LBB48_14
; %bb.18:                               ;   in Loop: Header=BB48_15 Depth=1
	v_add_u32_e32 v28, v32, v15
	v_pk_mov_b32 v[22:23], 0, 0
	v_cmp_lt_i32_e32 vcc, v28, v24
	v_pk_mov_b32 v[26:27], v[22:23], v[22:23] op_sel:[0,1]
	s_and_saveexec_b64 s[24:25], vcc
	s_cbranch_execz .LBB48_30
; %bb.19:                               ;   in Loop: Header=BB48_15 Depth=1
	v_pk_mov_b32 v[22:23], 0, 0
	s_mov_b64 s[26:27], 0
	v_pk_mov_b32 v[26:27], v[22:23], v[22:23] op_sel:[0,1]
	s_branch .LBB48_22
.LBB48_20:                              ;   in Loop: Header=BB48_22 Depth=2
	s_or_b64 exec, exec, s[30:31]
.LBB48_21:                              ;   in Loop: Header=BB48_22 Depth=2
	s_or_b64 exec, exec, s[28:29]
	v_add_u32_e32 v28, 64, v28
	v_cmp_ge_i32_e32 vcc, v28, v24
	s_or_b64 s[26:27], vcc, s[26:27]
	s_andn2_b64 exec, exec, s[26:27]
	s_cbranch_execz .LBB48_29
.LBB48_22:                              ;   Parent Loop BB48_15 Depth=1
                                        ; =>  This Loop Header: Depth=2
                                        ;       Child Loop BB48_25 Depth 3
	v_ashrrev_i32_e32 v29, 31, v28
	v_lshlrev_b64 v[38:39], 2, v[28:29]
	v_mov_b32_e32 v15, s19
	v_add_co_u32_e32 v38, vcc, s18, v38
	v_addc_co_u32_e32 v39, vcc, v15, v39, vcc
	global_load_dword v15, v[38:39], off
	s_waitcnt vmcnt(0)
	v_mul_lo_u32 v25, v15, s17
	v_and_b32_e32 v39, 0xff, v25
	v_lshl_add_u32 v25, v39, 2, v30
	ds_read_b32 v38, v25
	s_waitcnt lgkmcnt(0)
	v_cmp_ne_u32_e32 vcc, -1, v38
	s_and_saveexec_b64 s[28:29], vcc
	s_cbranch_execz .LBB48_21
; %bb.23:                               ;   in Loop: Header=BB48_22 Depth=2
	s_mov_b64 s[34:35], 0
                                        ; implicit-def: $sgpr30_sgpr31
                                        ; implicit-def: $sgpr38_sgpr39
                                        ; implicit-def: $sgpr36_sgpr37
	s_branch .LBB48_25
.LBB48_24:                              ;   in Loop: Header=BB48_25 Depth=3
	s_or_b64 exec, exec, s[40:41]
	s_and_b64 s[40:41], exec, s[38:39]
	s_or_b64 s[34:35], s[40:41], s[34:35]
	s_andn2_b64 s[30:31], s[30:31], exec
	s_and_b64 s[40:41], s[36:37], exec
	s_or_b64 s[30:31], s[30:31], s[40:41]
	s_andn2_b64 exec, exec, s[34:35]
	s_cbranch_execz .LBB48_27
.LBB48_25:                              ;   Parent Loop BB48_15 Depth=1
                                        ;     Parent Loop BB48_22 Depth=2
                                        ; =>    This Inner Loop Header: Depth=3
	v_mov_b32_e32 v25, v39
	v_cmp_ne_u32_e32 vcc, v38, v15
	s_or_b64 s[36:37], s[36:37], exec
	s_or_b64 s[38:39], s[38:39], exec
                                        ; implicit-def: $vgpr39
                                        ; implicit-def: $vgpr38
	s_and_saveexec_b64 s[40:41], vcc
	s_cbranch_execz .LBB48_24
; %bb.26:                               ;   in Loop: Header=BB48_25 Depth=3
	v_add_u32_e32 v38, 1, v25
	v_and_b32_e32 v39, 0xff, v38
	v_lshl_add_u32 v38, v39, 2, v30
	ds_read_b32 v38, v38
	s_andn2_b64 s[38:39], s[38:39], exec
	s_andn2_b64 s[36:37], s[36:37], exec
	s_waitcnt lgkmcnt(0)
	v_cmp_eq_u32_e32 vcc, -1, v38
	s_and_b64 s[42:43], vcc, exec
	s_or_b64 s[38:39], s[38:39], s[42:43]
	s_branch .LBB48_24
.LBB48_27:                              ;   in Loop: Header=BB48_22 Depth=2
	s_or_b64 exec, exec, s[34:35]
	s_and_saveexec_b64 s[34:35], s[30:31]
	s_xor_b64 s[30:31], exec, s[34:35]
	s_cbranch_execz .LBB48_20
; %bb.28:                               ;   in Loop: Header=BB48_22 Depth=2
	v_lshl_add_u32 v15, v25, 2, v11
	ds_read_b32 v38, v15
	v_lshlrev_b64 v[40:41], 4, v[28:29]
	v_mov_b32_e32 v15, s21
	v_add_co_u32_e32 v46, vcc, s20, v40
	s_waitcnt lgkmcnt(0)
	v_ashrrev_i32_e32 v39, 31, v38
	v_addc_co_u32_e32 v47, vcc, v15, v41, vcc
	v_lshlrev_b64 v[38:39], 4, v[38:39]
	v_add_co_u32_e32 v48, vcc, s20, v38
	v_addc_co_u32_e32 v49, vcc, v15, v39, vcc
	global_load_dwordx4 v[38:41], v[46:47], off
	global_load_dwordx4 v[42:45], v[48:49], off
	s_waitcnt vmcnt(0)
	v_fmac_f64_e32 v[26:27], v[38:39], v[42:43]
	v_fmac_f64_e32 v[22:23], v[40:41], v[42:43]
	;; [unrolled: 1-line block ×3, first 2 shown]
	v_fma_f64 v[22:23], v[38:39], -v[44:45], v[22:23]
	s_branch .LBB48_20
.LBB48_29:                              ;   in Loop: Header=BB48_15 Depth=1
	s_or_b64 exec, exec, s[26:27]
.LBB48_30:                              ;   in Loop: Header=BB48_15 Depth=1
	s_or_b64 exec, exec, s[24:25]
	v_mov_b32_dpp v24, v26 row_shr:1 row_mask:0xf bank_mask:0xf
	v_mov_b32_dpp v25, v27 row_shr:1 row_mask:0xf bank_mask:0xf
	v_mov_b32_dpp v28, v22 row_shr:1 row_mask:0xf bank_mask:0xf
	v_mov_b32_dpp v29, v23 row_shr:1 row_mask:0xf bank_mask:0xf
	v_add_f64 v[24:25], v[26:27], v[24:25]
	v_add_f64 v[22:23], v[22:23], v[28:29]
	s_nop 0
	v_mov_b32_dpp v26, v24 row_shr:2 row_mask:0xf bank_mask:0xf
	v_mov_b32_dpp v27, v25 row_shr:2 row_mask:0xf bank_mask:0xf
	v_mov_b32_dpp v28, v22 row_shr:2 row_mask:0xf bank_mask:0xf
	v_mov_b32_dpp v29, v23 row_shr:2 row_mask:0xf bank_mask:0xf
	v_add_f64 v[24:25], v[24:25], v[26:27]
	v_add_f64 v[22:23], v[22:23], v[28:29]
	s_nop 0
	;; [unrolled: 7-line block ×4, first 2 shown]
	v_mov_b32_dpp v26, v24 row_bcast:15 row_mask:0xa bank_mask:0xf
	v_mov_b32_dpp v27, v25 row_bcast:15 row_mask:0xa bank_mask:0xf
	;; [unrolled: 1-line block ×4, first 2 shown]
	v_add_f64 v[24:25], v[24:25], v[26:27]
	v_add_f64 v[22:23], v[22:23], v[28:29]
	s_nop 0
	v_mov_b32_dpp v26, v24 row_bcast:31 row_mask:0xc bank_mask:0xf
	v_mov_b32_dpp v27, v25 row_bcast:31 row_mask:0xc bank_mask:0xf
	;; [unrolled: 1-line block ×4, first 2 shown]
	s_and_saveexec_b64 s[24:25], s[0:1]
	s_cbranch_execz .LBB48_13
; %bb.31:                               ;   in Loop: Header=BB48_15 Depth=1
	v_mul_f64 v[38:39], v[6:7], v[6:7]
	v_fmac_f64_e32 v[38:39], v[4:5], v[4:5]
	v_div_scale_f64 v[40:41], s[26:27], v[38:39], v[38:39], 1.0
	v_rcp_f64_e32 v[42:43], v[40:41]
	v_div_scale_f64 v[44:45], vcc, 1.0, v[38:39], 1.0
	v_fma_f64 v[46:47], -v[40:41], v[42:43], 1.0
	v_fmac_f64_e32 v[42:43], v[42:43], v[46:47]
	v_fma_f64 v[46:47], -v[40:41], v[42:43], 1.0
	v_fmac_f64_e32 v[42:43], v[42:43], v[46:47]
	v_mul_f64 v[46:47], v[44:45], v[42:43]
	v_fma_f64 v[40:41], -v[40:41], v[46:47], v[44:45]
	v_div_fmas_f64 v[40:41], v[40:41], v[42:43], v[46:47]
	v_div_fixup_f64 v[38:39], v[40:41], v[38:39], 1.0
	v_fma_f64 v[40:41], 0, v[6:7], v[4:5]
	v_fma_f64 v[4:5], v[4:5], 0, -v[6:7]
	v_add_f64 v[6:7], v[22:23], v[28:29]
	v_add_f64 v[22:23], v[24:25], v[26:27]
	v_mul_f64 v[4:5], v[4:5], v[38:39]
	v_add_f64 v[22:23], v[0:1], -v[22:23]
	v_add_f64 v[6:7], v[2:3], -v[6:7]
	v_mul_f64 v[40:41], v[40:41], v[38:39]
	v_mul_f64 v[0:1], v[4:5], -v[6:7]
	v_mul_f64 v[2:3], v[4:5], v[22:23]
	v_fmac_f64_e32 v[0:1], v[22:23], v[40:41]
	v_fmac_f64_e32 v[2:3], v[6:7], v[40:41]
	;; [unrolled: 1-line block ×5, first 2 shown]
	v_fma_f64 v[16:17], v[0:1], -v[2:3], v[16:17]
	global_store_dwordx4 v[20:21], v[0:3], off
	s_branch .LBB48_13
.LBB48_32:
	s_or_b64 exec, exec, s[10:11]
.LBB48_33:
	s_or_b64 exec, exec, s[6:7]
	v_cmp_eq_u32_e64 s[0:1], 63, v13
	v_cmp_lt_i32_e32 vcc, -1, v12
	s_and_b64 s[2:3], s[0:1], vcc
	s_and_saveexec_b64 s[6:7], s[2:3]
	s_cbranch_execz .LBB48_50
; %bb.34:
	v_mov_b32_e32 v13, 0
	v_lshlrev_b64 v[0:1], 4, v[12:13]
	v_mov_b32_e32 v2, s21
	v_add_co_u32_e32 v0, vcc, s20, v0
	v_addc_co_u32_e32 v1, vcc, v2, v1, vcc
	global_load_dwordx4 v[2:5], v[0:1], off
	s_load_dwordx2 s[2:3], s[4:5], 0x48
	s_waitcnt lgkmcnt(0)
	v_mul_f64 v[12:13], s[2:3], s[2:3]
	s_waitcnt vmcnt(0)
	v_add_f64 v[2:3], v[2:3], -v[18:19]
	v_add_f64 v[6:7], v[4:5], -v[16:17]
	v_cmp_le_f64_e32 vcc, v[2:3], v[12:13]
	v_cmp_eq_f64_e64 s[2:3], 0, v[6:7]
	s_and_b64 s[4:5], vcc, s[2:3]
	v_add_u32_e32 v12, s33, v10
	s_and_saveexec_b64 s[2:3], s[4:5]
	s_cbranch_execz .LBB48_39
; %bb.35:
	s_mov_b64 s[4:5], exec
	s_brev_b32 s10, -2
.LBB48_36:                              ; =>This Inner Loop Header: Depth=1
	s_ff1_i32_b64 s11, s[4:5]
	v_readlane_b32 s18, v12, s11
	s_lshl_b64 s[16:17], 1, s11
	s_min_i32 s10, s10, s18
	s_andn2_b64 s[4:5], s[4:5], s[16:17]
	s_cmp_lg_u64 s[4:5], 0
	s_cbranch_scc1 .LBB48_36
; %bb.37:
	v_mbcnt_lo_u32_b32 v4, exec_lo, 0
	v_mbcnt_hi_u32_b32 v4, exec_hi, v4
	v_cmp_eq_u32_e32 vcc, 0, v4
	s_and_saveexec_b64 s[4:5], vcc
	s_xor_b64 s[4:5], exec, s[4:5]
	s_cbranch_execz .LBB48_39
; %bb.38:
	v_mov_b32_e32 v4, 0
	v_mov_b32_e32 v5, s10
	global_atomic_smin v4, v5, s[14:15]
.LBB48_39:
	s_or_b64 exec, exec, s[2:3]
	v_xor_b32_e32 v4, 0x80000000, v3
	v_cmp_gt_f64_e32 vcc, 0, v[2:3]
	v_cndmask_b32_e32 v3, v3, v4, vcc
	v_cndmask_b32_e32 v2, v2, v2, vcc
	v_xor_b32_e32 v4, 0x80000000, v7
	v_cmp_gt_f64_e32 vcc, 0, v[6:7]
	v_cndmask_b32_e32 v5, v7, v4, vcc
	v_cndmask_b32_e32 v4, v6, v6, vcc
	v_cmp_ngt_f64_e32 vcc, v[2:3], v[4:5]
                                        ; implicit-def: $vgpr10_vgpr11
	s_and_saveexec_b64 s[2:3], vcc
	s_xor_b64 s[2:3], exec, s[2:3]
	s_cbranch_execz .LBB48_43
; %bb.40:
	v_cmp_neq_f64_e32 vcc, 0, v[6:7]
	v_pk_mov_b32 v[10:11], 0, 0
	s_and_saveexec_b64 s[4:5], vcc
	s_cbranch_execz .LBB48_42
; %bb.41:
	v_div_scale_f64 v[6:7], s[10:11], v[4:5], v[4:5], v[2:3]
	v_rcp_f64_e32 v[10:11], v[6:7]
	v_div_scale_f64 v[14:15], vcc, v[2:3], v[4:5], v[2:3]
	s_mov_b32 s10, 0
	v_fma_f64 v[16:17], -v[6:7], v[10:11], 1.0
	v_fmac_f64_e32 v[10:11], v[10:11], v[16:17]
	v_fma_f64 v[16:17], -v[6:7], v[10:11], 1.0
	v_fmac_f64_e32 v[10:11], v[10:11], v[16:17]
	v_mul_f64 v[16:17], v[14:15], v[10:11]
	v_fma_f64 v[6:7], -v[6:7], v[16:17], v[14:15]
	v_div_fmas_f64 v[6:7], v[6:7], v[10:11], v[16:17]
	v_div_fixup_f64 v[2:3], v[6:7], v[4:5], v[2:3]
	v_fma_f64 v[2:3], v[2:3], v[2:3], 1.0
	s_brev_b32 s11, 8
	v_cmp_gt_f64_e32 vcc, s[10:11], v[2:3]
	v_cndmask_b32_e64 v6, 0, 1, vcc
	v_lshlrev_b32_e32 v6, 8, v6
	v_ldexp_f64 v[2:3], v[2:3], v6
	v_rsq_f64_e32 v[6:7], v[2:3]
	v_mul_f64 v[10:11], v[2:3], v[6:7]
	v_mul_f64 v[6:7], v[6:7], 0.5
	v_fma_f64 v[14:15], -v[6:7], v[10:11], 0.5
	v_fmac_f64_e32 v[10:11], v[10:11], v[14:15]
	v_fma_f64 v[16:17], -v[10:11], v[10:11], v[2:3]
	v_fmac_f64_e32 v[6:7], v[6:7], v[14:15]
	v_fmac_f64_e32 v[10:11], v[16:17], v[6:7]
	v_fma_f64 v[14:15], -v[10:11], v[10:11], v[2:3]
	v_fmac_f64_e32 v[10:11], v[14:15], v[6:7]
	v_mov_b32_e32 v6, 0xffffff80
	v_cndmask_b32_e32 v6, 0, v6, vcc
	v_ldexp_f64 v[6:7], v[10:11], v6
	v_mov_b32_e32 v10, 0x260
	v_cmp_class_f64_e32 vcc, v[2:3], v10
	v_cndmask_b32_e32 v3, v7, v3, vcc
	v_cndmask_b32_e32 v2, v6, v2, vcc
	v_mul_f64 v[10:11], v[4:5], v[2:3]
.LBB48_42:
	s_or_b64 exec, exec, s[4:5]
                                        ; implicit-def: $vgpr2_vgpr3
                                        ; implicit-def: $vgpr4_vgpr5
.LBB48_43:
	s_andn2_saveexec_b64 s[2:3], s[2:3]
	s_cbranch_execz .LBB48_45
; %bb.44:
	v_div_scale_f64 v[6:7], s[4:5], v[2:3], v[2:3], v[4:5]
	v_rcp_f64_e32 v[10:11], v[6:7]
	v_div_scale_f64 v[14:15], vcc, v[4:5], v[2:3], v[4:5]
	s_mov_b32 s4, 0
	v_fma_f64 v[16:17], -v[6:7], v[10:11], 1.0
	v_fmac_f64_e32 v[10:11], v[10:11], v[16:17]
	v_fma_f64 v[16:17], -v[6:7], v[10:11], 1.0
	v_fmac_f64_e32 v[10:11], v[10:11], v[16:17]
	v_mul_f64 v[16:17], v[14:15], v[10:11]
	v_fma_f64 v[6:7], -v[6:7], v[16:17], v[14:15]
	v_div_fmas_f64 v[6:7], v[6:7], v[10:11], v[16:17]
	v_div_fixup_f64 v[4:5], v[6:7], v[2:3], v[4:5]
	v_fma_f64 v[4:5], v[4:5], v[4:5], 1.0
	s_brev_b32 s5, 8
	v_cmp_gt_f64_e32 vcc, s[4:5], v[4:5]
	v_cndmask_b32_e64 v6, 0, 1, vcc
	v_lshlrev_b32_e32 v6, 8, v6
	v_ldexp_f64 v[4:5], v[4:5], v6
	v_rsq_f64_e32 v[6:7], v[4:5]
	v_mul_f64 v[10:11], v[4:5], v[6:7]
	v_mul_f64 v[6:7], v[6:7], 0.5
	v_fma_f64 v[14:15], -v[6:7], v[10:11], 0.5
	v_fmac_f64_e32 v[10:11], v[10:11], v[14:15]
	v_fma_f64 v[16:17], -v[10:11], v[10:11], v[4:5]
	v_fmac_f64_e32 v[6:7], v[6:7], v[14:15]
	v_fmac_f64_e32 v[10:11], v[16:17], v[6:7]
	v_fma_f64 v[14:15], -v[10:11], v[10:11], v[4:5]
	v_fmac_f64_e32 v[10:11], v[14:15], v[6:7]
	v_mov_b32_e32 v6, 0xffffff80
	v_cndmask_b32_e32 v6, 0, v6, vcc
	v_ldexp_f64 v[6:7], v[10:11], v6
	v_mov_b32_e32 v10, 0x260
	v_cmp_class_f64_e32 vcc, v[4:5], v10
	v_cndmask_b32_e32 v5, v7, v5, vcc
	v_cndmask_b32_e32 v4, v6, v4, vcc
	v_mul_f64 v[10:11], v[2:3], v[4:5]
.LBB48_45:
	s_or_b64 exec, exec, s[2:3]
	s_mov_b32 s2, 0
	s_brev_b32 s3, 8
	v_cmp_gt_f64_e32 vcc, s[2:3], v[10:11]
	v_cndmask_b32_e64 v2, 0, 1, vcc
	v_lshlrev_b32_e32 v2, 8, v2
	v_ldexp_f64 v[2:3], v[10:11], v2
	v_rsq_f64_e32 v[4:5], v[2:3]
	v_mul_f64 v[6:7], v[2:3], v[4:5]
	v_mul_f64 v[4:5], v[4:5], 0.5
	v_fma_f64 v[10:11], -v[4:5], v[6:7], 0.5
	v_fmac_f64_e32 v[6:7], v[6:7], v[10:11]
	v_fma_f64 v[14:15], -v[6:7], v[6:7], v[2:3]
	v_fmac_f64_e32 v[4:5], v[4:5], v[10:11]
	v_fmac_f64_e32 v[6:7], v[14:15], v[4:5]
	v_fma_f64 v[10:11], -v[6:7], v[6:7], v[2:3]
	v_fmac_f64_e32 v[6:7], v[10:11], v[4:5]
	v_mov_b32_e32 v5, 0xffffff80
	v_cndmask_b32_e32 v5, 0, v5, vcc
	v_ldexp_f64 v[6:7], v[6:7], v5
	v_mov_b32_e32 v5, 0x260
	v_cmp_class_f64_e32 vcc, v[2:3], v5
	v_mov_b32_e32 v4, 0
	v_cndmask_b32_e32 v3, v7, v3, vcc
	v_cndmask_b32_e32 v2, v6, v2, vcc
	v_mov_b32_e32 v5, v4
	v_cmp_eq_f64_e32 vcc, 0, v[2:3]
	global_store_dwordx4 v[0:1], v[2:5], off
	s_and_b64 exec, exec, vcc
	s_cbranch_execz .LBB48_50
; %bb.46:
	s_mov_b64 s[2:3], exec
	s_brev_b32 s4, -2
.LBB48_47:                              ; =>This Inner Loop Header: Depth=1
	s_ff1_i32_b64 s5, s[2:3]
	v_readlane_b32 s14, v12, s5
	s_lshl_b64 s[10:11], 1, s5
	s_min_i32 s4, s4, s14
	s_andn2_b64 s[2:3], s[2:3], s[10:11]
	s_cmp_lg_u64 s[2:3], 0
	s_cbranch_scc1 .LBB48_47
; %bb.48:
	v_mbcnt_lo_u32_b32 v0, exec_lo, 0
	v_mbcnt_hi_u32_b32 v0, exec_hi, v0
	v_cmp_eq_u32_e32 vcc, 0, v0
	s_and_saveexec_b64 s[2:3], vcc
	s_xor_b64 s[2:3], exec, s[2:3]
	s_cbranch_execz .LBB48_50
; %bb.49:
	v_mov_b32_e32 v0, 0
	v_mov_b32_e32 v1, s4
	global_atomic_smin v0, v1, s[12:13]
.LBB48_50:
	s_or_b64 exec, exec, s[6:7]
	s_and_b64 exec, exec, s[0:1]
	s_cbranch_execz .LBB48_52
; %bb.51:
	v_mov_b32_e32 v1, s9
	v_add_co_u32_e32 v0, vcc, s8, v8
	v_addc_co_u32_e32 v1, vcc, v1, v9, vcc
	v_mov_b32_e32 v2, 1
	s_waitcnt vmcnt(0)
	global_store_dword v[0:1], v2, off
.LBB48_52:
	s_endpgm
	.section	.rodata,"a",@progbits
	.p2align	6, 0x0
	.amdhsa_kernel _ZN9rocsparseL18csric0_hash_kernelILj256ELj64ELj4E21rocsparse_complex_numIdEEEviPKiS4_PT2_S4_PiS4_S7_S7_d21rocsparse_index_base_
		.amdhsa_group_segment_fixed_size 8192
		.amdhsa_private_segment_fixed_size 0
		.amdhsa_kernarg_size 84
		.amdhsa_user_sgpr_count 6
		.amdhsa_user_sgpr_private_segment_buffer 1
		.amdhsa_user_sgpr_dispatch_ptr 0
		.amdhsa_user_sgpr_queue_ptr 0
		.amdhsa_user_sgpr_kernarg_segment_ptr 1
		.amdhsa_user_sgpr_dispatch_id 0
		.amdhsa_user_sgpr_flat_scratch_init 0
		.amdhsa_user_sgpr_kernarg_preload_length 0
		.amdhsa_user_sgpr_kernarg_preload_offset 0
		.amdhsa_user_sgpr_private_segment_size 0
		.amdhsa_uses_dynamic_stack 0
		.amdhsa_system_sgpr_private_segment_wavefront_offset 0
		.amdhsa_system_sgpr_workgroup_id_x 1
		.amdhsa_system_sgpr_workgroup_id_y 0
		.amdhsa_system_sgpr_workgroup_id_z 0
		.amdhsa_system_sgpr_workgroup_info 0
		.amdhsa_system_vgpr_workitem_id 0
		.amdhsa_next_free_vgpr 50
		.amdhsa_next_free_sgpr 44
		.amdhsa_accum_offset 52
		.amdhsa_reserve_vcc 1
		.amdhsa_reserve_flat_scratch 0
		.amdhsa_float_round_mode_32 0
		.amdhsa_float_round_mode_16_64 0
		.amdhsa_float_denorm_mode_32 3
		.amdhsa_float_denorm_mode_16_64 3
		.amdhsa_dx10_clamp 1
		.amdhsa_ieee_mode 1
		.amdhsa_fp16_overflow 0
		.amdhsa_tg_split 0
		.amdhsa_exception_fp_ieee_invalid_op 0
		.amdhsa_exception_fp_denorm_src 0
		.amdhsa_exception_fp_ieee_div_zero 0
		.amdhsa_exception_fp_ieee_overflow 0
		.amdhsa_exception_fp_ieee_underflow 0
		.amdhsa_exception_fp_ieee_inexact 0
		.amdhsa_exception_int_div_zero 0
	.end_amdhsa_kernel
	.section	.text._ZN9rocsparseL18csric0_hash_kernelILj256ELj64ELj4E21rocsparse_complex_numIdEEEviPKiS4_PT2_S4_PiS4_S7_S7_d21rocsparse_index_base_,"axG",@progbits,_ZN9rocsparseL18csric0_hash_kernelILj256ELj64ELj4E21rocsparse_complex_numIdEEEviPKiS4_PT2_S4_PiS4_S7_S7_d21rocsparse_index_base_,comdat
.Lfunc_end48:
	.size	_ZN9rocsparseL18csric0_hash_kernelILj256ELj64ELj4E21rocsparse_complex_numIdEEEviPKiS4_PT2_S4_PiS4_S7_S7_d21rocsparse_index_base_, .Lfunc_end48-_ZN9rocsparseL18csric0_hash_kernelILj256ELj64ELj4E21rocsparse_complex_numIdEEEviPKiS4_PT2_S4_PiS4_S7_S7_d21rocsparse_index_base_
                                        ; -- End function
	.section	.AMDGPU.csdata,"",@progbits
; Kernel info:
; codeLenInByte = 2872
; NumSgprs: 48
; NumVgprs: 50
; NumAgprs: 0
; TotalNumVgprs: 50
; ScratchSize: 0
; MemoryBound: 0
; FloatMode: 240
; IeeeMode: 1
; LDSByteSize: 8192 bytes/workgroup (compile time only)
; SGPRBlocks: 5
; VGPRBlocks: 6
; NumSGPRsForWavesPerEU: 48
; NumVGPRsForWavesPerEU: 50
; AccumOffset: 52
; Occupancy: 8
; WaveLimiterHint : 1
; COMPUTE_PGM_RSRC2:SCRATCH_EN: 0
; COMPUTE_PGM_RSRC2:USER_SGPR: 6
; COMPUTE_PGM_RSRC2:TRAP_HANDLER: 0
; COMPUTE_PGM_RSRC2:TGID_X_EN: 1
; COMPUTE_PGM_RSRC2:TGID_Y_EN: 0
; COMPUTE_PGM_RSRC2:TGID_Z_EN: 0
; COMPUTE_PGM_RSRC2:TIDIG_COMP_CNT: 0
; COMPUTE_PGM_RSRC3_GFX90A:ACCUM_OFFSET: 12
; COMPUTE_PGM_RSRC3_GFX90A:TG_SPLIT: 0
	.section	.text._ZN9rocsparseL18csric0_hash_kernelILj256ELj64ELj8E21rocsparse_complex_numIdEEEviPKiS4_PT2_S4_PiS4_S7_S7_d21rocsparse_index_base_,"axG",@progbits,_ZN9rocsparseL18csric0_hash_kernelILj256ELj64ELj8E21rocsparse_complex_numIdEEEviPKiS4_PT2_S4_PiS4_S7_S7_d21rocsparse_index_base_,comdat
	.globl	_ZN9rocsparseL18csric0_hash_kernelILj256ELj64ELj8E21rocsparse_complex_numIdEEEviPKiS4_PT2_S4_PiS4_S7_S7_d21rocsparse_index_base_ ; -- Begin function _ZN9rocsparseL18csric0_hash_kernelILj256ELj64ELj8E21rocsparse_complex_numIdEEEviPKiS4_PT2_S4_PiS4_S7_S7_d21rocsparse_index_base_
	.p2align	8
	.type	_ZN9rocsparseL18csric0_hash_kernelILj256ELj64ELj8E21rocsparse_complex_numIdEEEviPKiS4_PT2_S4_PiS4_S7_S7_d21rocsparse_index_base_,@function
_ZN9rocsparseL18csric0_hash_kernelILj256ELj64ELj8E21rocsparse_complex_numIdEEEviPKiS4_PT2_S4_PiS4_S7_S7_d21rocsparse_index_base_: ; @_ZN9rocsparseL18csric0_hash_kernelILj256ELj64ELj8E21rocsparse_complex_numIdEEEviPKiS4_PT2_S4_PiS4_S7_S7_d21rocsparse_index_base_
; %bb.0:
	s_load_dword s0, s[4:5], 0x0
	v_lshlrev_b32_e32 v1, 3, v0
	s_lshl_b32 s1, s6, 2
	v_and_b32_e32 v13, 63, v0
	v_and_b32_e32 v1, 0x600, v1
	v_mov_b32_e32 v2, 0x2000
	v_lshrrev_b32_e32 v0, 6, v0
	s_and_b32 s1, s1, 0x3fffffc
	v_lshl_or_b32 v30, v1, 2, v2
	v_or_b32_e32 v0, s1, v0
	v_lshl_or_b32 v2, v13, 2, v30
	v_mov_b32_e32 v3, -1
	s_waitcnt lgkmcnt(0)
	v_cmp_gt_i32_e32 vcc, s0, v0
	ds_write2st64_b32 v2, v3, v3 offset1:1
	ds_write2st64_b32 v2, v3, v3 offset0:2 offset1:3
	ds_write2st64_b32 v2, v3, v3 offset0:4 offset1:5
	;; [unrolled: 1-line block ×3, first 2 shown]
	s_waitcnt lgkmcnt(0)
	s_and_saveexec_b64 s[0:1], vcc
	s_cbranch_execz .LBB49_52
; %bb.1:
	s_load_dwordx8 s[8:15], s[4:5], 0x28
	v_lshlrev_b32_e32 v0, 2, v0
	s_load_dwordx8 s[16:23], s[4:5], 0x8
	s_load_dword s33, s[4:5], 0x50
	s_waitcnt lgkmcnt(0)
	global_load_dword v10, v0, s[10:11]
	v_mov_b32_e32 v3, s17
	v_mov_b32_e32 v0, s23
	s_waitcnt vmcnt(0)
	v_ashrrev_i32_e32 v11, 31, v10
	v_lshlrev_b64 v[8:9], 2, v[10:11]
	v_add_co_u32_e32 v2, vcc, s16, v8
	v_addc_co_u32_e32 v3, vcc, v3, v9, vcc
	global_load_dwordx2 v[2:3], v[2:3], off
	v_add_co_u32_e32 v4, vcc, s22, v8
	v_addc_co_u32_e32 v5, vcc, v0, v9, vcc
	global_load_dword v12, v[4:5], off
	v_lshlrev_b32_e32 v11, 2, v1
	s_waitcnt vmcnt(1)
	v_subrev_u32_e32 v14, s33, v2
	v_subrev_u32_e32 v2, s33, v3
	v_add_u32_e32 v0, v14, v13
	v_cmp_lt_i32_e32 vcc, v0, v2
	s_and_saveexec_b64 s[0:1], vcc
	s_cbranch_execz .LBB49_11
; %bb.2:
	s_mov_b64 s[2:3], 0
	v_mov_b32_e32 v3, s19
	s_movk_i32 s34, 0x67
	v_mov_b32_e32 v4, -1
	s_branch .LBB49_4
.LBB49_3:                               ;   in Loop: Header=BB49_4 Depth=1
	s_or_b64 exec, exec, s[6:7]
	v_add_u32_e32 v0, 64, v0
	v_cmp_ge_i32_e32 vcc, v0, v2
	s_or_b64 s[2:3], vcc, s[2:3]
	s_andn2_b64 exec, exec, s[2:3]
	s_cbranch_execz .LBB49_11
.LBB49_4:                               ; =>This Loop Header: Depth=1
                                        ;     Child Loop BB49_7 Depth 2
	v_ashrrev_i32_e32 v1, 31, v0
	v_lshlrev_b64 v[6:7], 2, v[0:1]
	v_add_co_u32_e32 v6, vcc, s18, v6
	v_addc_co_u32_e32 v7, vcc, v3, v7, vcc
	global_load_dword v1, v[6:7], off
	s_waitcnt vmcnt(0)
	v_mul_lo_u32 v5, v1, s34
	v_and_b32_e32 v5, 0x1ff, v5
	v_lshl_add_u32 v6, v5, 2, v30
	ds_read_b32 v7, v6
	s_waitcnt lgkmcnt(0)
	v_cmp_ne_u32_e32 vcc, v7, v1
	s_and_saveexec_b64 s[6:7], vcc
	s_cbranch_execz .LBB49_3
; %bb.5:                                ;   in Loop: Header=BB49_4 Depth=1
	s_mov_b64 s[10:11], 0
                                        ; implicit-def: $sgpr24_sgpr25
                                        ; implicit-def: $sgpr28_sgpr29
                                        ; implicit-def: $sgpr26_sgpr27
	s_branch .LBB49_7
.LBB49_6:                               ;   in Loop: Header=BB49_7 Depth=2
	s_or_b64 exec, exec, s[30:31]
	s_and_b64 s[30:31], exec, s[28:29]
	s_or_b64 s[10:11], s[30:31], s[10:11]
	s_andn2_b64 s[24:25], s[24:25], exec
	s_and_b64 s[30:31], s[26:27], exec
	s_or_b64 s[24:25], s[24:25], s[30:31]
	s_andn2_b64 exec, exec, s[10:11]
	s_cbranch_execz .LBB49_9
.LBB49_7:                               ;   Parent Loop BB49_4 Depth=1
                                        ; =>  This Inner Loop Header: Depth=2
	ds_cmpst_rtn_b32 v6, v6, v4, v1
	v_mov_b32_e32 v7, v5
	s_or_b64 s[26:27], s[26:27], exec
	s_or_b64 s[28:29], s[28:29], exec
                                        ; implicit-def: $vgpr5
	s_waitcnt lgkmcnt(0)
	v_cmp_ne_u32_e32 vcc, -1, v6
                                        ; implicit-def: $vgpr6
	s_and_saveexec_b64 s[30:31], vcc
	s_cbranch_execz .LBB49_6
; %bb.8:                                ;   in Loop: Header=BB49_7 Depth=2
	v_add_u32_e32 v5, 1, v7
	v_and_b32_e32 v5, 0x1ff, v5
	v_lshl_add_u32 v6, v5, 2, v30
	ds_read_b32 v15, v6
	s_andn2_b64 s[28:29], s[28:29], exec
	s_andn2_b64 s[26:27], s[26:27], exec
	s_waitcnt lgkmcnt(0)
	v_cmp_eq_u32_e32 vcc, v15, v1
	s_and_b64 s[36:37], vcc, exec
	s_or_b64 s[28:29], s[28:29], s[36:37]
	s_branch .LBB49_6
.LBB49_9:                               ;   in Loop: Header=BB49_4 Depth=1
	s_or_b64 exec, exec, s[10:11]
	s_and_saveexec_b64 s[10:11], s[24:25]
	s_xor_b64 s[10:11], exec, s[10:11]
	s_cbranch_execz .LBB49_3
; %bb.10:                               ;   in Loop: Header=BB49_4 Depth=1
	v_lshl_add_u32 v1, v7, 2, v11
	ds_write_b32 v1, v0
	s_branch .LBB49_3
.LBB49_11:
	s_or_b64 exec, exec, s[0:1]
	v_pk_mov_b32 v[16:17], 0, 0
	s_waitcnt vmcnt(0)
	v_cmp_lt_i32_e32 vcc, v14, v12
	s_mov_b64 s[10:11], 0
	v_pk_mov_b32 v[18:19], v[16:17], v[16:17] op_sel:[0,1]
	s_waitcnt lgkmcnt(0)
	s_and_saveexec_b64 s[6:7], vcc
	s_cbranch_execz .LBB49_33
; %bb.12:
	v_pk_mov_b32 v[16:17], 0, 0
	v_add_u32_e32 v31, -1, v12
	v_subrev_u32_e32 v32, s33, v13
	v_cmp_eq_u32_e64 s[0:1], 63, v13
	v_mov_b32_e32 v33, s19
	v_mov_b32_e32 v34, s21
	;; [unrolled: 1-line block ×5, first 2 shown]
	s_movk_i32 s17, 0x67
	v_pk_mov_b32 v[18:19], v[16:17], v[16:17] op_sel:[0,1]
	s_branch .LBB49_15
.LBB49_13:                              ;   in Loop: Header=BB49_15 Depth=1
	s_or_b64 exec, exec, s[24:25]
	v_add_u32_e32 v14, 1, v14
	v_cmp_ge_i32_e32 vcc, v14, v12
	s_orn2_b64 s[24:25], vcc, exec
.LBB49_14:                              ;   in Loop: Header=BB49_15 Depth=1
	s_or_b64 exec, exec, s[2:3]
	s_and_b64 s[2:3], exec, s[24:25]
	s_or_b64 s[10:11], s[2:3], s[10:11]
	s_andn2_b64 exec, exec, s[10:11]
	s_cbranch_execz .LBB49_32
.LBB49_15:                              ; =>This Loop Header: Depth=1
                                        ;     Child Loop BB49_16 Depth 2
                                        ;     Child Loop BB49_22 Depth 2
                                        ;       Child Loop BB49_25 Depth 3
	v_ashrrev_i32_e32 v15, 31, v14
	v_lshlrev_b64 v[0:1], 2, v[14:15]
	v_add_co_u32_e32 v0, vcc, s18, v0
	v_addc_co_u32_e32 v1, vcc, v33, v1, vcc
	global_load_dword v4, v[0:1], off
	v_lshlrev_b64 v[0:1], 4, v[14:15]
	v_add_co_u32_e32 v20, vcc, s20, v0
	v_addc_co_u32_e32 v21, vcc, v34, v1, vcc
	global_load_dwordx4 v[0:3], v[20:21], off
	s_mov_b64 s[2:3], 0
	s_waitcnt vmcnt(1)
	v_subrev_u32_e32 v4, s33, v4
	v_ashrrev_i32_e32 v5, 31, v4
	v_lshlrev_b64 v[4:5], 2, v[4:5]
	v_add_co_u32_e32 v22, vcc, s16, v4
	v_addc_co_u32_e32 v23, vcc, v35, v5, vcc
	v_add_co_u32_e32 v24, vcc, s22, v4
	v_addc_co_u32_e32 v25, vcc, v36, v5, vcc
	global_load_dword v15, v[22:23], off
	global_load_dword v6, v[24:25], off
	v_add_co_u32_e32 v4, vcc, s8, v4
	v_addc_co_u32_e32 v5, vcc, v37, v5, vcc
.LBB49_16:                              ;   Parent Loop BB49_15 Depth=1
                                        ; =>  This Inner Loop Header: Depth=2
	global_load_dword v7, v[4:5], off glc
	s_waitcnt vmcnt(0)
	v_cmp_ne_u32_e32 vcc, 0, v7
	s_or_b64 s[2:3], vcc, s[2:3]
	s_andn2_b64 exec, exec, s[2:3]
	s_cbranch_execnz .LBB49_16
; %bb.17:                               ;   in Loop: Header=BB49_15 Depth=1
	s_or_b64 exec, exec, s[2:3]
	v_cmp_eq_u32_e32 vcc, -1, v6
	v_cndmask_b32_e32 v24, v6, v31, vcc
	v_ashrrev_i32_e32 v25, 31, v24
	v_lshlrev_b64 v[4:5], 4, v[24:25]
	v_add_co_u32_e32 v4, vcc, s20, v4
	v_addc_co_u32_e32 v5, vcc, v34, v5, vcc
	buffer_wbinvl1_vol
	global_load_dwordx4 v[4:7], v[4:5], off
	s_mov_b64 s[24:25], -1
	s_waitcnt vmcnt(0)
	v_cmp_neq_f64_e32 vcc, 0, v[4:5]
	v_cmp_neq_f64_e64 s[2:3], 0, v[6:7]
	s_or_b64 s[26:27], vcc, s[2:3]
	s_and_saveexec_b64 s[2:3], s[26:27]
	s_cbranch_execz .LBB49_14
; %bb.18:                               ;   in Loop: Header=BB49_15 Depth=1
	v_add_u32_e32 v28, v32, v15
	v_pk_mov_b32 v[22:23], 0, 0
	v_cmp_lt_i32_e32 vcc, v28, v24
	v_pk_mov_b32 v[26:27], v[22:23], v[22:23] op_sel:[0,1]
	s_and_saveexec_b64 s[24:25], vcc
	s_cbranch_execz .LBB49_30
; %bb.19:                               ;   in Loop: Header=BB49_15 Depth=1
	v_pk_mov_b32 v[22:23], 0, 0
	s_mov_b64 s[26:27], 0
	v_pk_mov_b32 v[26:27], v[22:23], v[22:23] op_sel:[0,1]
	s_branch .LBB49_22
.LBB49_20:                              ;   in Loop: Header=BB49_22 Depth=2
	s_or_b64 exec, exec, s[30:31]
.LBB49_21:                              ;   in Loop: Header=BB49_22 Depth=2
	s_or_b64 exec, exec, s[28:29]
	v_add_u32_e32 v28, 64, v28
	v_cmp_ge_i32_e32 vcc, v28, v24
	s_or_b64 s[26:27], vcc, s[26:27]
	s_andn2_b64 exec, exec, s[26:27]
	s_cbranch_execz .LBB49_29
.LBB49_22:                              ;   Parent Loop BB49_15 Depth=1
                                        ; =>  This Loop Header: Depth=2
                                        ;       Child Loop BB49_25 Depth 3
	v_ashrrev_i32_e32 v29, 31, v28
	v_lshlrev_b64 v[38:39], 2, v[28:29]
	v_add_co_u32_e32 v38, vcc, s18, v38
	v_addc_co_u32_e32 v39, vcc, v33, v39, vcc
	global_load_dword v15, v[38:39], off
	s_waitcnt vmcnt(0)
	v_mul_lo_u32 v25, v15, s17
	v_and_b32_e32 v39, 0x1ff, v25
	v_lshl_add_u32 v25, v39, 2, v30
	ds_read_b32 v38, v25
	s_waitcnt lgkmcnt(0)
	v_cmp_ne_u32_e32 vcc, -1, v38
	s_and_saveexec_b64 s[28:29], vcc
	s_cbranch_execz .LBB49_21
; %bb.23:                               ;   in Loop: Header=BB49_22 Depth=2
	s_mov_b64 s[34:35], 0
                                        ; implicit-def: $sgpr30_sgpr31
                                        ; implicit-def: $sgpr38_sgpr39
                                        ; implicit-def: $sgpr36_sgpr37
	s_branch .LBB49_25
.LBB49_24:                              ;   in Loop: Header=BB49_25 Depth=3
	s_or_b64 exec, exec, s[40:41]
	s_and_b64 s[40:41], exec, s[38:39]
	s_or_b64 s[34:35], s[40:41], s[34:35]
	s_andn2_b64 s[30:31], s[30:31], exec
	s_and_b64 s[40:41], s[36:37], exec
	s_or_b64 s[30:31], s[30:31], s[40:41]
	s_andn2_b64 exec, exec, s[34:35]
	s_cbranch_execz .LBB49_27
.LBB49_25:                              ;   Parent Loop BB49_15 Depth=1
                                        ;     Parent Loop BB49_22 Depth=2
                                        ; =>    This Inner Loop Header: Depth=3
	v_mov_b32_e32 v25, v39
	v_cmp_ne_u32_e32 vcc, v38, v15
	s_or_b64 s[36:37], s[36:37], exec
	s_or_b64 s[38:39], s[38:39], exec
                                        ; implicit-def: $vgpr39
                                        ; implicit-def: $vgpr38
	s_and_saveexec_b64 s[40:41], vcc
	s_cbranch_execz .LBB49_24
; %bb.26:                               ;   in Loop: Header=BB49_25 Depth=3
	v_add_u32_e32 v38, 1, v25
	v_and_b32_e32 v39, 0x1ff, v38
	v_lshl_add_u32 v38, v39, 2, v30
	ds_read_b32 v38, v38
	s_andn2_b64 s[38:39], s[38:39], exec
	s_andn2_b64 s[36:37], s[36:37], exec
	s_waitcnt lgkmcnt(0)
	v_cmp_eq_u32_e32 vcc, -1, v38
	s_and_b64 s[42:43], vcc, exec
	s_or_b64 s[38:39], s[38:39], s[42:43]
	s_branch .LBB49_24
.LBB49_27:                              ;   in Loop: Header=BB49_22 Depth=2
	s_or_b64 exec, exec, s[34:35]
	s_and_saveexec_b64 s[34:35], s[30:31]
	s_xor_b64 s[30:31], exec, s[34:35]
	s_cbranch_execz .LBB49_20
; %bb.28:                               ;   in Loop: Header=BB49_22 Depth=2
	v_lshl_add_u32 v15, v25, 2, v11
	ds_read_b32 v38, v15
	v_lshlrev_b64 v[40:41], 4, v[28:29]
	v_add_co_u32_e32 v46, vcc, s20, v40
	v_addc_co_u32_e32 v47, vcc, v34, v41, vcc
	s_waitcnt lgkmcnt(0)
	v_ashrrev_i32_e32 v39, 31, v38
	v_lshlrev_b64 v[38:39], 4, v[38:39]
	v_add_co_u32_e32 v48, vcc, s20, v38
	v_addc_co_u32_e32 v49, vcc, v34, v39, vcc
	global_load_dwordx4 v[38:41], v[46:47], off
	global_load_dwordx4 v[42:45], v[48:49], off
	s_waitcnt vmcnt(0)
	v_fmac_f64_e32 v[26:27], v[38:39], v[42:43]
	v_fmac_f64_e32 v[22:23], v[40:41], v[42:43]
	;; [unrolled: 1-line block ×3, first 2 shown]
	v_fma_f64 v[22:23], v[38:39], -v[44:45], v[22:23]
	s_branch .LBB49_20
.LBB49_29:                              ;   in Loop: Header=BB49_15 Depth=1
	s_or_b64 exec, exec, s[26:27]
.LBB49_30:                              ;   in Loop: Header=BB49_15 Depth=1
	s_or_b64 exec, exec, s[24:25]
	v_mov_b32_dpp v24, v26 row_shr:1 row_mask:0xf bank_mask:0xf
	v_mov_b32_dpp v25, v27 row_shr:1 row_mask:0xf bank_mask:0xf
	v_mov_b32_dpp v28, v22 row_shr:1 row_mask:0xf bank_mask:0xf
	v_mov_b32_dpp v29, v23 row_shr:1 row_mask:0xf bank_mask:0xf
	v_add_f64 v[24:25], v[26:27], v[24:25]
	v_add_f64 v[22:23], v[22:23], v[28:29]
	s_nop 0
	v_mov_b32_dpp v26, v24 row_shr:2 row_mask:0xf bank_mask:0xf
	v_mov_b32_dpp v27, v25 row_shr:2 row_mask:0xf bank_mask:0xf
	v_mov_b32_dpp v28, v22 row_shr:2 row_mask:0xf bank_mask:0xf
	v_mov_b32_dpp v29, v23 row_shr:2 row_mask:0xf bank_mask:0xf
	v_add_f64 v[24:25], v[24:25], v[26:27]
	v_add_f64 v[22:23], v[22:23], v[28:29]
	s_nop 0
	;; [unrolled: 7-line block ×4, first 2 shown]
	v_mov_b32_dpp v26, v24 row_bcast:15 row_mask:0xa bank_mask:0xf
	v_mov_b32_dpp v27, v25 row_bcast:15 row_mask:0xa bank_mask:0xf
	;; [unrolled: 1-line block ×4, first 2 shown]
	v_add_f64 v[24:25], v[24:25], v[26:27]
	v_add_f64 v[22:23], v[22:23], v[28:29]
	s_nop 0
	v_mov_b32_dpp v26, v24 row_bcast:31 row_mask:0xc bank_mask:0xf
	v_mov_b32_dpp v27, v25 row_bcast:31 row_mask:0xc bank_mask:0xf
	;; [unrolled: 1-line block ×4, first 2 shown]
	s_and_saveexec_b64 s[24:25], s[0:1]
	s_cbranch_execz .LBB49_13
; %bb.31:                               ;   in Loop: Header=BB49_15 Depth=1
	v_mul_f64 v[38:39], v[6:7], v[6:7]
	v_fmac_f64_e32 v[38:39], v[4:5], v[4:5]
	v_div_scale_f64 v[40:41], s[26:27], v[38:39], v[38:39], 1.0
	v_rcp_f64_e32 v[42:43], v[40:41]
	v_div_scale_f64 v[44:45], vcc, 1.0, v[38:39], 1.0
	v_fma_f64 v[46:47], -v[40:41], v[42:43], 1.0
	v_fmac_f64_e32 v[42:43], v[42:43], v[46:47]
	v_fma_f64 v[46:47], -v[40:41], v[42:43], 1.0
	v_fmac_f64_e32 v[42:43], v[42:43], v[46:47]
	v_mul_f64 v[46:47], v[44:45], v[42:43]
	v_fma_f64 v[40:41], -v[40:41], v[46:47], v[44:45]
	v_div_fmas_f64 v[40:41], v[40:41], v[42:43], v[46:47]
	v_div_fixup_f64 v[38:39], v[40:41], v[38:39], 1.0
	v_fma_f64 v[40:41], 0, v[6:7], v[4:5]
	v_fma_f64 v[4:5], v[4:5], 0, -v[6:7]
	v_add_f64 v[6:7], v[22:23], v[28:29]
	v_add_f64 v[22:23], v[24:25], v[26:27]
	v_mul_f64 v[4:5], v[4:5], v[38:39]
	v_add_f64 v[22:23], v[0:1], -v[22:23]
	v_add_f64 v[6:7], v[2:3], -v[6:7]
	v_mul_f64 v[40:41], v[40:41], v[38:39]
	v_mul_f64 v[0:1], v[4:5], -v[6:7]
	v_mul_f64 v[2:3], v[4:5], v[22:23]
	v_fmac_f64_e32 v[0:1], v[22:23], v[40:41]
	v_fmac_f64_e32 v[2:3], v[6:7], v[40:41]
	;; [unrolled: 1-line block ×5, first 2 shown]
	v_fma_f64 v[16:17], v[0:1], -v[2:3], v[16:17]
	global_store_dwordx4 v[20:21], v[0:3], off
	s_branch .LBB49_13
.LBB49_32:
	s_or_b64 exec, exec, s[10:11]
.LBB49_33:
	s_or_b64 exec, exec, s[6:7]
	v_cmp_eq_u32_e64 s[0:1], 63, v13
	v_cmp_lt_i32_e32 vcc, -1, v12
	s_and_b64 s[2:3], s[0:1], vcc
	s_and_saveexec_b64 s[6:7], s[2:3]
	s_cbranch_execz .LBB49_50
; %bb.34:
	v_mov_b32_e32 v13, 0
	v_lshlrev_b64 v[0:1], 4, v[12:13]
	v_mov_b32_e32 v2, s21
	v_add_co_u32_e32 v0, vcc, s20, v0
	v_addc_co_u32_e32 v1, vcc, v2, v1, vcc
	global_load_dwordx4 v[2:5], v[0:1], off
	s_load_dwordx2 s[2:3], s[4:5], 0x48
	s_waitcnt lgkmcnt(0)
	v_mul_f64 v[12:13], s[2:3], s[2:3]
	s_waitcnt vmcnt(0)
	v_add_f64 v[2:3], v[2:3], -v[18:19]
	v_add_f64 v[6:7], v[4:5], -v[16:17]
	v_cmp_le_f64_e32 vcc, v[2:3], v[12:13]
	v_cmp_eq_f64_e64 s[2:3], 0, v[6:7]
	s_and_b64 s[4:5], vcc, s[2:3]
	v_add_u32_e32 v12, s33, v10
	s_and_saveexec_b64 s[2:3], s[4:5]
	s_cbranch_execz .LBB49_39
; %bb.35:
	s_mov_b64 s[4:5], exec
	s_brev_b32 s10, -2
.LBB49_36:                              ; =>This Inner Loop Header: Depth=1
	s_ff1_i32_b64 s11, s[4:5]
	v_readlane_b32 s18, v12, s11
	s_lshl_b64 s[16:17], 1, s11
	s_min_i32 s10, s10, s18
	s_andn2_b64 s[4:5], s[4:5], s[16:17]
	s_cmp_lg_u64 s[4:5], 0
	s_cbranch_scc1 .LBB49_36
; %bb.37:
	v_mbcnt_lo_u32_b32 v4, exec_lo, 0
	v_mbcnt_hi_u32_b32 v4, exec_hi, v4
	v_cmp_eq_u32_e32 vcc, 0, v4
	s_and_saveexec_b64 s[4:5], vcc
	s_xor_b64 s[4:5], exec, s[4:5]
	s_cbranch_execz .LBB49_39
; %bb.38:
	v_mov_b32_e32 v4, 0
	v_mov_b32_e32 v5, s10
	global_atomic_smin v4, v5, s[14:15]
.LBB49_39:
	s_or_b64 exec, exec, s[2:3]
	v_xor_b32_e32 v4, 0x80000000, v3
	v_cmp_gt_f64_e32 vcc, 0, v[2:3]
	v_cndmask_b32_e32 v3, v3, v4, vcc
	v_cndmask_b32_e32 v2, v2, v2, vcc
	v_xor_b32_e32 v4, 0x80000000, v7
	v_cmp_gt_f64_e32 vcc, 0, v[6:7]
	v_cndmask_b32_e32 v5, v7, v4, vcc
	v_cndmask_b32_e32 v4, v6, v6, vcc
	v_cmp_ngt_f64_e32 vcc, v[2:3], v[4:5]
                                        ; implicit-def: $vgpr10_vgpr11
	s_and_saveexec_b64 s[2:3], vcc
	s_xor_b64 s[2:3], exec, s[2:3]
	s_cbranch_execz .LBB49_43
; %bb.40:
	v_cmp_neq_f64_e32 vcc, 0, v[6:7]
	v_pk_mov_b32 v[10:11], 0, 0
	s_and_saveexec_b64 s[4:5], vcc
	s_cbranch_execz .LBB49_42
; %bb.41:
	v_div_scale_f64 v[6:7], s[10:11], v[4:5], v[4:5], v[2:3]
	v_rcp_f64_e32 v[10:11], v[6:7]
	v_div_scale_f64 v[14:15], vcc, v[2:3], v[4:5], v[2:3]
	s_mov_b32 s10, 0
	v_fma_f64 v[16:17], -v[6:7], v[10:11], 1.0
	v_fmac_f64_e32 v[10:11], v[10:11], v[16:17]
	v_fma_f64 v[16:17], -v[6:7], v[10:11], 1.0
	v_fmac_f64_e32 v[10:11], v[10:11], v[16:17]
	v_mul_f64 v[16:17], v[14:15], v[10:11]
	v_fma_f64 v[6:7], -v[6:7], v[16:17], v[14:15]
	v_div_fmas_f64 v[6:7], v[6:7], v[10:11], v[16:17]
	v_div_fixup_f64 v[2:3], v[6:7], v[4:5], v[2:3]
	v_fma_f64 v[2:3], v[2:3], v[2:3], 1.0
	s_brev_b32 s11, 8
	v_cmp_gt_f64_e32 vcc, s[10:11], v[2:3]
	v_cndmask_b32_e64 v6, 0, 1, vcc
	v_lshlrev_b32_e32 v6, 8, v6
	v_ldexp_f64 v[2:3], v[2:3], v6
	v_rsq_f64_e32 v[6:7], v[2:3]
	v_mul_f64 v[10:11], v[2:3], v[6:7]
	v_mul_f64 v[6:7], v[6:7], 0.5
	v_fma_f64 v[14:15], -v[6:7], v[10:11], 0.5
	v_fmac_f64_e32 v[10:11], v[10:11], v[14:15]
	v_fma_f64 v[16:17], -v[10:11], v[10:11], v[2:3]
	v_fmac_f64_e32 v[6:7], v[6:7], v[14:15]
	v_fmac_f64_e32 v[10:11], v[16:17], v[6:7]
	v_fma_f64 v[14:15], -v[10:11], v[10:11], v[2:3]
	v_fmac_f64_e32 v[10:11], v[14:15], v[6:7]
	v_mov_b32_e32 v6, 0xffffff80
	v_cndmask_b32_e32 v6, 0, v6, vcc
	v_ldexp_f64 v[6:7], v[10:11], v6
	v_mov_b32_e32 v10, 0x260
	v_cmp_class_f64_e32 vcc, v[2:3], v10
	v_cndmask_b32_e32 v3, v7, v3, vcc
	v_cndmask_b32_e32 v2, v6, v2, vcc
	v_mul_f64 v[10:11], v[4:5], v[2:3]
.LBB49_42:
	s_or_b64 exec, exec, s[4:5]
                                        ; implicit-def: $vgpr2_vgpr3
                                        ; implicit-def: $vgpr4_vgpr5
.LBB49_43:
	s_andn2_saveexec_b64 s[2:3], s[2:3]
	s_cbranch_execz .LBB49_45
; %bb.44:
	v_div_scale_f64 v[6:7], s[4:5], v[2:3], v[2:3], v[4:5]
	v_rcp_f64_e32 v[10:11], v[6:7]
	v_div_scale_f64 v[14:15], vcc, v[4:5], v[2:3], v[4:5]
	s_mov_b32 s4, 0
	v_fma_f64 v[16:17], -v[6:7], v[10:11], 1.0
	v_fmac_f64_e32 v[10:11], v[10:11], v[16:17]
	v_fma_f64 v[16:17], -v[6:7], v[10:11], 1.0
	v_fmac_f64_e32 v[10:11], v[10:11], v[16:17]
	v_mul_f64 v[16:17], v[14:15], v[10:11]
	v_fma_f64 v[6:7], -v[6:7], v[16:17], v[14:15]
	v_div_fmas_f64 v[6:7], v[6:7], v[10:11], v[16:17]
	v_div_fixup_f64 v[4:5], v[6:7], v[2:3], v[4:5]
	v_fma_f64 v[4:5], v[4:5], v[4:5], 1.0
	s_brev_b32 s5, 8
	v_cmp_gt_f64_e32 vcc, s[4:5], v[4:5]
	v_cndmask_b32_e64 v6, 0, 1, vcc
	v_lshlrev_b32_e32 v6, 8, v6
	v_ldexp_f64 v[4:5], v[4:5], v6
	v_rsq_f64_e32 v[6:7], v[4:5]
	v_mul_f64 v[10:11], v[4:5], v[6:7]
	v_mul_f64 v[6:7], v[6:7], 0.5
	v_fma_f64 v[14:15], -v[6:7], v[10:11], 0.5
	v_fmac_f64_e32 v[10:11], v[10:11], v[14:15]
	v_fma_f64 v[16:17], -v[10:11], v[10:11], v[4:5]
	v_fmac_f64_e32 v[6:7], v[6:7], v[14:15]
	v_fmac_f64_e32 v[10:11], v[16:17], v[6:7]
	v_fma_f64 v[14:15], -v[10:11], v[10:11], v[4:5]
	v_fmac_f64_e32 v[10:11], v[14:15], v[6:7]
	v_mov_b32_e32 v6, 0xffffff80
	v_cndmask_b32_e32 v6, 0, v6, vcc
	v_ldexp_f64 v[6:7], v[10:11], v6
	v_mov_b32_e32 v10, 0x260
	v_cmp_class_f64_e32 vcc, v[4:5], v10
	v_cndmask_b32_e32 v5, v7, v5, vcc
	v_cndmask_b32_e32 v4, v6, v4, vcc
	v_mul_f64 v[10:11], v[2:3], v[4:5]
.LBB49_45:
	s_or_b64 exec, exec, s[2:3]
	s_mov_b32 s2, 0
	s_brev_b32 s3, 8
	v_cmp_gt_f64_e32 vcc, s[2:3], v[10:11]
	v_cndmask_b32_e64 v2, 0, 1, vcc
	v_lshlrev_b32_e32 v2, 8, v2
	v_ldexp_f64 v[2:3], v[10:11], v2
	v_rsq_f64_e32 v[4:5], v[2:3]
	v_mul_f64 v[6:7], v[2:3], v[4:5]
	v_mul_f64 v[4:5], v[4:5], 0.5
	v_fma_f64 v[10:11], -v[4:5], v[6:7], 0.5
	v_fmac_f64_e32 v[6:7], v[6:7], v[10:11]
	v_fma_f64 v[14:15], -v[6:7], v[6:7], v[2:3]
	v_fmac_f64_e32 v[4:5], v[4:5], v[10:11]
	v_fmac_f64_e32 v[6:7], v[14:15], v[4:5]
	v_fma_f64 v[10:11], -v[6:7], v[6:7], v[2:3]
	v_fmac_f64_e32 v[6:7], v[10:11], v[4:5]
	v_mov_b32_e32 v5, 0xffffff80
	v_cndmask_b32_e32 v5, 0, v5, vcc
	v_ldexp_f64 v[6:7], v[6:7], v5
	v_mov_b32_e32 v5, 0x260
	v_cmp_class_f64_e32 vcc, v[2:3], v5
	v_mov_b32_e32 v4, 0
	v_cndmask_b32_e32 v3, v7, v3, vcc
	v_cndmask_b32_e32 v2, v6, v2, vcc
	v_mov_b32_e32 v5, v4
	v_cmp_eq_f64_e32 vcc, 0, v[2:3]
	global_store_dwordx4 v[0:1], v[2:5], off
	s_and_b64 exec, exec, vcc
	s_cbranch_execz .LBB49_50
; %bb.46:
	s_mov_b64 s[2:3], exec
	s_brev_b32 s4, -2
.LBB49_47:                              ; =>This Inner Loop Header: Depth=1
	s_ff1_i32_b64 s5, s[2:3]
	v_readlane_b32 s14, v12, s5
	s_lshl_b64 s[10:11], 1, s5
	s_min_i32 s4, s4, s14
	s_andn2_b64 s[2:3], s[2:3], s[10:11]
	s_cmp_lg_u64 s[2:3], 0
	s_cbranch_scc1 .LBB49_47
; %bb.48:
	v_mbcnt_lo_u32_b32 v0, exec_lo, 0
	v_mbcnt_hi_u32_b32 v0, exec_hi, v0
	v_cmp_eq_u32_e32 vcc, 0, v0
	s_and_saveexec_b64 s[2:3], vcc
	s_xor_b64 s[2:3], exec, s[2:3]
	s_cbranch_execz .LBB49_50
; %bb.49:
	v_mov_b32_e32 v0, 0
	v_mov_b32_e32 v1, s4
	global_atomic_smin v0, v1, s[12:13]
.LBB49_50:
	s_or_b64 exec, exec, s[6:7]
	s_and_b64 exec, exec, s[0:1]
	s_cbranch_execz .LBB49_52
; %bb.51:
	v_mov_b32_e32 v1, s9
	v_add_co_u32_e32 v0, vcc, s8, v8
	v_addc_co_u32_e32 v1, vcc, v1, v9, vcc
	v_mov_b32_e32 v2, 1
	s_waitcnt vmcnt(0)
	global_store_dword v[0:1], v2, off
.LBB49_52:
	s_endpgm
	.section	.rodata,"a",@progbits
	.p2align	6, 0x0
	.amdhsa_kernel _ZN9rocsparseL18csric0_hash_kernelILj256ELj64ELj8E21rocsparse_complex_numIdEEEviPKiS4_PT2_S4_PiS4_S7_S7_d21rocsparse_index_base_
		.amdhsa_group_segment_fixed_size 16384
		.amdhsa_private_segment_fixed_size 0
		.amdhsa_kernarg_size 84
		.amdhsa_user_sgpr_count 6
		.amdhsa_user_sgpr_private_segment_buffer 1
		.amdhsa_user_sgpr_dispatch_ptr 0
		.amdhsa_user_sgpr_queue_ptr 0
		.amdhsa_user_sgpr_kernarg_segment_ptr 1
		.amdhsa_user_sgpr_dispatch_id 0
		.amdhsa_user_sgpr_flat_scratch_init 0
		.amdhsa_user_sgpr_kernarg_preload_length 0
		.amdhsa_user_sgpr_kernarg_preload_offset 0
		.amdhsa_user_sgpr_private_segment_size 0
		.amdhsa_uses_dynamic_stack 0
		.amdhsa_system_sgpr_private_segment_wavefront_offset 0
		.amdhsa_system_sgpr_workgroup_id_x 1
		.amdhsa_system_sgpr_workgroup_id_y 0
		.amdhsa_system_sgpr_workgroup_id_z 0
		.amdhsa_system_sgpr_workgroup_info 0
		.amdhsa_system_vgpr_workitem_id 0
		.amdhsa_next_free_vgpr 50
		.amdhsa_next_free_sgpr 44
		.amdhsa_accum_offset 52
		.amdhsa_reserve_vcc 1
		.amdhsa_reserve_flat_scratch 0
		.amdhsa_float_round_mode_32 0
		.amdhsa_float_round_mode_16_64 0
		.amdhsa_float_denorm_mode_32 3
		.amdhsa_float_denorm_mode_16_64 3
		.amdhsa_dx10_clamp 1
		.amdhsa_ieee_mode 1
		.amdhsa_fp16_overflow 0
		.amdhsa_tg_split 0
		.amdhsa_exception_fp_ieee_invalid_op 0
		.amdhsa_exception_fp_denorm_src 0
		.amdhsa_exception_fp_ieee_div_zero 0
		.amdhsa_exception_fp_ieee_overflow 0
		.amdhsa_exception_fp_ieee_underflow 0
		.amdhsa_exception_fp_ieee_inexact 0
		.amdhsa_exception_int_div_zero 0
	.end_amdhsa_kernel
	.section	.text._ZN9rocsparseL18csric0_hash_kernelILj256ELj64ELj8E21rocsparse_complex_numIdEEEviPKiS4_PT2_S4_PiS4_S7_S7_d21rocsparse_index_base_,"axG",@progbits,_ZN9rocsparseL18csric0_hash_kernelILj256ELj64ELj8E21rocsparse_complex_numIdEEEviPKiS4_PT2_S4_PiS4_S7_S7_d21rocsparse_index_base_,comdat
.Lfunc_end49:
	.size	_ZN9rocsparseL18csric0_hash_kernelILj256ELj64ELj8E21rocsparse_complex_numIdEEEviPKiS4_PT2_S4_PiS4_S7_S7_d21rocsparse_index_base_, .Lfunc_end49-_ZN9rocsparseL18csric0_hash_kernelILj256ELj64ELj8E21rocsparse_complex_numIdEEEviPKiS4_PT2_S4_PiS4_S7_S7_d21rocsparse_index_base_
                                        ; -- End function
	.section	.AMDGPU.csdata,"",@progbits
; Kernel info:
; codeLenInByte = 2880
; NumSgprs: 48
; NumVgprs: 50
; NumAgprs: 0
; TotalNumVgprs: 50
; ScratchSize: 0
; MemoryBound: 0
; FloatMode: 240
; IeeeMode: 1
; LDSByteSize: 16384 bytes/workgroup (compile time only)
; SGPRBlocks: 5
; VGPRBlocks: 6
; NumSGPRsForWavesPerEU: 48
; NumVGPRsForWavesPerEU: 50
; AccumOffset: 52
; Occupancy: 4
; WaveLimiterHint : 1
; COMPUTE_PGM_RSRC2:SCRATCH_EN: 0
; COMPUTE_PGM_RSRC2:USER_SGPR: 6
; COMPUTE_PGM_RSRC2:TRAP_HANDLER: 0
; COMPUTE_PGM_RSRC2:TGID_X_EN: 1
; COMPUTE_PGM_RSRC2:TGID_Y_EN: 0
; COMPUTE_PGM_RSRC2:TGID_Z_EN: 0
; COMPUTE_PGM_RSRC2:TIDIG_COMP_CNT: 0
; COMPUTE_PGM_RSRC3_GFX90A:ACCUM_OFFSET: 12
; COMPUTE_PGM_RSRC3_GFX90A:TG_SPLIT: 0
	.section	.text._ZN9rocsparseL18csric0_hash_kernelILj256ELj64ELj16E21rocsparse_complex_numIdEEEviPKiS4_PT2_S4_PiS4_S7_S7_d21rocsparse_index_base_,"axG",@progbits,_ZN9rocsparseL18csric0_hash_kernelILj256ELj64ELj16E21rocsparse_complex_numIdEEEviPKiS4_PT2_S4_PiS4_S7_S7_d21rocsparse_index_base_,comdat
	.globl	_ZN9rocsparseL18csric0_hash_kernelILj256ELj64ELj16E21rocsparse_complex_numIdEEEviPKiS4_PT2_S4_PiS4_S7_S7_d21rocsparse_index_base_ ; -- Begin function _ZN9rocsparseL18csric0_hash_kernelILj256ELj64ELj16E21rocsparse_complex_numIdEEEviPKiS4_PT2_S4_PiS4_S7_S7_d21rocsparse_index_base_
	.p2align	8
	.type	_ZN9rocsparseL18csric0_hash_kernelILj256ELj64ELj16E21rocsparse_complex_numIdEEEviPKiS4_PT2_S4_PiS4_S7_S7_d21rocsparse_index_base_,@function
_ZN9rocsparseL18csric0_hash_kernelILj256ELj64ELj16E21rocsparse_complex_numIdEEEviPKiS4_PT2_S4_PiS4_S7_S7_d21rocsparse_index_base_: ; @_ZN9rocsparseL18csric0_hash_kernelILj256ELj64ELj16E21rocsparse_complex_numIdEEEviPKiS4_PT2_S4_PiS4_S7_S7_d21rocsparse_index_base_
; %bb.0:
	s_load_dwordx8 s[16:23], s[4:5], 0x8
	s_load_dwordx8 s[8:15], s[4:5], 0x28
	v_and_b32_e32 v13, 63, v0
	v_lshrrev_b32_e32 v1, 6, v0
	v_lshlrev_b32_e32 v3, 12, v1
	v_lshlrev_b32_e32 v4, 2, v13
	s_movk_i32 s0, 0x4000
	v_or_b32_e32 v2, 0xffffffc0, v13
	v_or3_b32 v3, v3, v4, s0
	s_mov_b64 s[0:1], 0
	v_mov_b32_e32 v4, -1
	s_movk_i32 s2, 0x3bf
.LBB50_1:                               ; =>This Inner Loop Header: Depth=1
	v_add_u32_e32 v2, 64, v2
	v_cmp_lt_u32_e32 vcc, s2, v2
	ds_write_b32 v3, v4
	s_or_b64 s[0:1], vcc, s[0:1]
	v_add_u32_e32 v3, 0x100, v3
	s_andn2_b64 exec, exec, s[0:1]
	s_cbranch_execnz .LBB50_1
; %bb.2:
	s_or_b64 exec, exec, s[0:1]
	s_load_dword s0, s[4:5], 0x0
	s_lshl_b32 s1, s6, 2
	s_and_b32 s1, s1, 0x3fffffc
	v_or_b32_e32 v1, s1, v1
	s_waitcnt lgkmcnt(0)
	v_cmp_gt_i32_e32 vcc, s0, v1
	s_and_saveexec_b64 s[0:1], vcc
	s_cbranch_execz .LBB50_54
; %bb.3:
	v_lshlrev_b32_e32 v1, 2, v1
	global_load_dword v10, v1, s[10:11]
	v_mov_b32_e32 v3, s17
	v_mov_b32_e32 v1, s23
	s_load_dword s33, s[4:5], 0x50
	v_lshlrev_b32_e32 v0, 6, v0
	s_waitcnt vmcnt(0)
	v_ashrrev_i32_e32 v11, 31, v10
	v_lshlrev_b64 v[8:9], 2, v[10:11]
	v_add_co_u32_e32 v2, vcc, s16, v8
	v_addc_co_u32_e32 v3, vcc, v3, v9, vcc
	global_load_dwordx2 v[2:3], v[2:3], off
	v_add_co_u32_e32 v4, vcc, s22, v8
	v_addc_co_u32_e32 v5, vcc, v1, v9, vcc
	global_load_dword v12, v[4:5], off
	v_and_b32_e32 v11, 0x3000, v0
	v_or_b32_e32 v30, 0x4000, v11
	s_waitcnt vmcnt(1) lgkmcnt(0)
	v_subrev_u32_e32 v14, s33, v2
	v_subrev_u32_e32 v2, s33, v3
	v_add_u32_e32 v0, v14, v13
	v_cmp_lt_i32_e32 vcc, v0, v2
	s_and_saveexec_b64 s[0:1], vcc
	s_cbranch_execz .LBB50_13
; %bb.4:
	s_mov_b64 s[2:3], 0
	v_mov_b32_e32 v3, s19
	s_movk_i32 s34, 0x67
	v_mov_b32_e32 v4, -1
	s_branch .LBB50_6
.LBB50_5:                               ;   in Loop: Header=BB50_6 Depth=1
	s_or_b64 exec, exec, s[6:7]
	v_add_u32_e32 v0, 64, v0
	v_cmp_ge_i32_e32 vcc, v0, v2
	s_or_b64 s[2:3], vcc, s[2:3]
	s_andn2_b64 exec, exec, s[2:3]
	s_cbranch_execz .LBB50_13
.LBB50_6:                               ; =>This Loop Header: Depth=1
                                        ;     Child Loop BB50_9 Depth 2
	v_ashrrev_i32_e32 v1, 31, v0
	v_lshlrev_b64 v[6:7], 2, v[0:1]
	v_add_co_u32_e32 v6, vcc, s18, v6
	v_addc_co_u32_e32 v7, vcc, v3, v7, vcc
	global_load_dword v1, v[6:7], off
	s_waitcnt vmcnt(0)
	v_mul_lo_u32 v5, v1, s34
	v_and_b32_e32 v5, 0x3ff, v5
	v_lshl_add_u32 v6, v5, 2, v30
	ds_read_b32 v7, v6
	s_waitcnt lgkmcnt(0)
	v_cmp_ne_u32_e32 vcc, v7, v1
	s_and_saveexec_b64 s[6:7], vcc
	s_cbranch_execz .LBB50_5
; %bb.7:                                ;   in Loop: Header=BB50_6 Depth=1
	s_mov_b64 s[10:11], 0
                                        ; implicit-def: $sgpr24_sgpr25
                                        ; implicit-def: $sgpr28_sgpr29
                                        ; implicit-def: $sgpr26_sgpr27
	s_branch .LBB50_9
.LBB50_8:                               ;   in Loop: Header=BB50_9 Depth=2
	s_or_b64 exec, exec, s[30:31]
	s_and_b64 s[30:31], exec, s[28:29]
	s_or_b64 s[10:11], s[30:31], s[10:11]
	s_andn2_b64 s[24:25], s[24:25], exec
	s_and_b64 s[30:31], s[26:27], exec
	s_or_b64 s[24:25], s[24:25], s[30:31]
	s_andn2_b64 exec, exec, s[10:11]
	s_cbranch_execz .LBB50_11
.LBB50_9:                               ;   Parent Loop BB50_6 Depth=1
                                        ; =>  This Inner Loop Header: Depth=2
	ds_cmpst_rtn_b32 v6, v6, v4, v1
	v_mov_b32_e32 v7, v5
	s_or_b64 s[26:27], s[26:27], exec
	s_or_b64 s[28:29], s[28:29], exec
                                        ; implicit-def: $vgpr5
	s_waitcnt lgkmcnt(0)
	v_cmp_ne_u32_e32 vcc, -1, v6
                                        ; implicit-def: $vgpr6
	s_and_saveexec_b64 s[30:31], vcc
	s_cbranch_execz .LBB50_8
; %bb.10:                               ;   in Loop: Header=BB50_9 Depth=2
	v_add_u32_e32 v5, 1, v7
	v_and_b32_e32 v5, 0x3ff, v5
	v_lshl_add_u32 v6, v5, 2, v30
	ds_read_b32 v15, v6
	s_andn2_b64 s[28:29], s[28:29], exec
	s_andn2_b64 s[26:27], s[26:27], exec
	s_waitcnt lgkmcnt(0)
	v_cmp_eq_u32_e32 vcc, v15, v1
	s_and_b64 s[36:37], vcc, exec
	s_or_b64 s[28:29], s[28:29], s[36:37]
	s_branch .LBB50_8
.LBB50_11:                              ;   in Loop: Header=BB50_6 Depth=1
	s_or_b64 exec, exec, s[10:11]
	s_and_saveexec_b64 s[10:11], s[24:25]
	s_xor_b64 s[10:11], exec, s[10:11]
	s_cbranch_execz .LBB50_5
; %bb.12:                               ;   in Loop: Header=BB50_6 Depth=1
	v_lshl_add_u32 v1, v7, 2, v11
	ds_write_b32 v1, v0
	s_branch .LBB50_5
.LBB50_13:
	s_or_b64 exec, exec, s[0:1]
	v_pk_mov_b32 v[16:17], 0, 0
	s_waitcnt vmcnt(0)
	v_cmp_lt_i32_e32 vcc, v14, v12
	s_mov_b64 s[10:11], 0
	v_pk_mov_b32 v[18:19], v[16:17], v[16:17] op_sel:[0,1]
	s_waitcnt lgkmcnt(0)
	s_and_saveexec_b64 s[6:7], vcc
	s_cbranch_execz .LBB50_35
; %bb.14:
	v_pk_mov_b32 v[16:17], 0, 0
	v_add_u32_e32 v31, -1, v12
	v_subrev_u32_e32 v32, s33, v13
	v_cmp_eq_u32_e64 s[0:1], 63, v13
	v_mov_b32_e32 v33, s19
	v_mov_b32_e32 v34, s21
	;; [unrolled: 1-line block ×5, first 2 shown]
	s_movk_i32 s17, 0x67
	v_pk_mov_b32 v[18:19], v[16:17], v[16:17] op_sel:[0,1]
	s_branch .LBB50_17
.LBB50_15:                              ;   in Loop: Header=BB50_17 Depth=1
	s_or_b64 exec, exec, s[24:25]
	v_add_u32_e32 v14, 1, v14
	v_cmp_ge_i32_e32 vcc, v14, v12
	s_orn2_b64 s[24:25], vcc, exec
.LBB50_16:                              ;   in Loop: Header=BB50_17 Depth=1
	s_or_b64 exec, exec, s[2:3]
	s_and_b64 s[2:3], exec, s[24:25]
	s_or_b64 s[10:11], s[2:3], s[10:11]
	s_andn2_b64 exec, exec, s[10:11]
	s_cbranch_execz .LBB50_34
.LBB50_17:                              ; =>This Loop Header: Depth=1
                                        ;     Child Loop BB50_18 Depth 2
                                        ;     Child Loop BB50_24 Depth 2
                                        ;       Child Loop BB50_27 Depth 3
	v_ashrrev_i32_e32 v15, 31, v14
	v_lshlrev_b64 v[0:1], 2, v[14:15]
	v_add_co_u32_e32 v0, vcc, s18, v0
	v_addc_co_u32_e32 v1, vcc, v33, v1, vcc
	global_load_dword v4, v[0:1], off
	v_lshlrev_b64 v[0:1], 4, v[14:15]
	v_add_co_u32_e32 v20, vcc, s20, v0
	v_addc_co_u32_e32 v21, vcc, v34, v1, vcc
	global_load_dwordx4 v[0:3], v[20:21], off
	s_mov_b64 s[2:3], 0
	s_waitcnt vmcnt(1)
	v_subrev_u32_e32 v4, s33, v4
	v_ashrrev_i32_e32 v5, 31, v4
	v_lshlrev_b64 v[4:5], 2, v[4:5]
	v_add_co_u32_e32 v22, vcc, s16, v4
	v_addc_co_u32_e32 v23, vcc, v35, v5, vcc
	v_add_co_u32_e32 v24, vcc, s22, v4
	v_addc_co_u32_e32 v25, vcc, v36, v5, vcc
	global_load_dword v15, v[22:23], off
	global_load_dword v6, v[24:25], off
	v_add_co_u32_e32 v4, vcc, s8, v4
	v_addc_co_u32_e32 v5, vcc, v37, v5, vcc
.LBB50_18:                              ;   Parent Loop BB50_17 Depth=1
                                        ; =>  This Inner Loop Header: Depth=2
	global_load_dword v7, v[4:5], off glc
	s_waitcnt vmcnt(0)
	v_cmp_ne_u32_e32 vcc, 0, v7
	s_or_b64 s[2:3], vcc, s[2:3]
	s_andn2_b64 exec, exec, s[2:3]
	s_cbranch_execnz .LBB50_18
; %bb.19:                               ;   in Loop: Header=BB50_17 Depth=1
	s_or_b64 exec, exec, s[2:3]
	v_cmp_eq_u32_e32 vcc, -1, v6
	v_cndmask_b32_e32 v24, v6, v31, vcc
	v_ashrrev_i32_e32 v25, 31, v24
	v_lshlrev_b64 v[4:5], 4, v[24:25]
	v_add_co_u32_e32 v4, vcc, s20, v4
	v_addc_co_u32_e32 v5, vcc, v34, v5, vcc
	buffer_wbinvl1_vol
	global_load_dwordx4 v[4:7], v[4:5], off
	s_mov_b64 s[24:25], -1
	s_waitcnt vmcnt(0)
	v_cmp_neq_f64_e32 vcc, 0, v[4:5]
	v_cmp_neq_f64_e64 s[2:3], 0, v[6:7]
	s_or_b64 s[26:27], vcc, s[2:3]
	s_and_saveexec_b64 s[2:3], s[26:27]
	s_cbranch_execz .LBB50_16
; %bb.20:                               ;   in Loop: Header=BB50_17 Depth=1
	v_add_u32_e32 v28, v32, v15
	v_pk_mov_b32 v[22:23], 0, 0
	v_cmp_lt_i32_e32 vcc, v28, v24
	v_pk_mov_b32 v[26:27], v[22:23], v[22:23] op_sel:[0,1]
	s_and_saveexec_b64 s[24:25], vcc
	s_cbranch_execz .LBB50_32
; %bb.21:                               ;   in Loop: Header=BB50_17 Depth=1
	v_pk_mov_b32 v[22:23], 0, 0
	s_mov_b64 s[26:27], 0
	v_pk_mov_b32 v[26:27], v[22:23], v[22:23] op_sel:[0,1]
	s_branch .LBB50_24
.LBB50_22:                              ;   in Loop: Header=BB50_24 Depth=2
	s_or_b64 exec, exec, s[30:31]
.LBB50_23:                              ;   in Loop: Header=BB50_24 Depth=2
	s_or_b64 exec, exec, s[28:29]
	v_add_u32_e32 v28, 64, v28
	v_cmp_ge_i32_e32 vcc, v28, v24
	s_or_b64 s[26:27], vcc, s[26:27]
	s_andn2_b64 exec, exec, s[26:27]
	s_cbranch_execz .LBB50_31
.LBB50_24:                              ;   Parent Loop BB50_17 Depth=1
                                        ; =>  This Loop Header: Depth=2
                                        ;       Child Loop BB50_27 Depth 3
	v_ashrrev_i32_e32 v29, 31, v28
	v_lshlrev_b64 v[38:39], 2, v[28:29]
	v_add_co_u32_e32 v38, vcc, s18, v38
	v_addc_co_u32_e32 v39, vcc, v33, v39, vcc
	global_load_dword v15, v[38:39], off
	s_waitcnt vmcnt(0)
	v_mul_lo_u32 v25, v15, s17
	v_and_b32_e32 v39, 0x3ff, v25
	v_lshl_add_u32 v25, v39, 2, v30
	ds_read_b32 v38, v25
	s_waitcnt lgkmcnt(0)
	v_cmp_ne_u32_e32 vcc, -1, v38
	s_and_saveexec_b64 s[28:29], vcc
	s_cbranch_execz .LBB50_23
; %bb.25:                               ;   in Loop: Header=BB50_24 Depth=2
	s_mov_b64 s[34:35], 0
                                        ; implicit-def: $sgpr30_sgpr31
                                        ; implicit-def: $sgpr38_sgpr39
                                        ; implicit-def: $sgpr36_sgpr37
	s_branch .LBB50_27
.LBB50_26:                              ;   in Loop: Header=BB50_27 Depth=3
	s_or_b64 exec, exec, s[40:41]
	s_and_b64 s[40:41], exec, s[38:39]
	s_or_b64 s[34:35], s[40:41], s[34:35]
	s_andn2_b64 s[30:31], s[30:31], exec
	s_and_b64 s[40:41], s[36:37], exec
	s_or_b64 s[30:31], s[30:31], s[40:41]
	s_andn2_b64 exec, exec, s[34:35]
	s_cbranch_execz .LBB50_29
.LBB50_27:                              ;   Parent Loop BB50_17 Depth=1
                                        ;     Parent Loop BB50_24 Depth=2
                                        ; =>    This Inner Loop Header: Depth=3
	v_mov_b32_e32 v25, v39
	v_cmp_ne_u32_e32 vcc, v38, v15
	s_or_b64 s[36:37], s[36:37], exec
	s_or_b64 s[38:39], s[38:39], exec
                                        ; implicit-def: $vgpr39
                                        ; implicit-def: $vgpr38
	s_and_saveexec_b64 s[40:41], vcc
	s_cbranch_execz .LBB50_26
; %bb.28:                               ;   in Loop: Header=BB50_27 Depth=3
	v_add_u32_e32 v38, 1, v25
	v_and_b32_e32 v39, 0x3ff, v38
	v_lshl_add_u32 v38, v39, 2, v30
	ds_read_b32 v38, v38
	s_andn2_b64 s[38:39], s[38:39], exec
	s_andn2_b64 s[36:37], s[36:37], exec
	s_waitcnt lgkmcnt(0)
	v_cmp_eq_u32_e32 vcc, -1, v38
	s_and_b64 s[42:43], vcc, exec
	s_or_b64 s[38:39], s[38:39], s[42:43]
	s_branch .LBB50_26
.LBB50_29:                              ;   in Loop: Header=BB50_24 Depth=2
	s_or_b64 exec, exec, s[34:35]
	s_and_saveexec_b64 s[34:35], s[30:31]
	s_xor_b64 s[30:31], exec, s[34:35]
	s_cbranch_execz .LBB50_22
; %bb.30:                               ;   in Loop: Header=BB50_24 Depth=2
	v_lshl_add_u32 v15, v25, 2, v11
	ds_read_b32 v38, v15
	v_lshlrev_b64 v[40:41], 4, v[28:29]
	v_add_co_u32_e32 v46, vcc, s20, v40
	v_addc_co_u32_e32 v47, vcc, v34, v41, vcc
	s_waitcnt lgkmcnt(0)
	v_ashrrev_i32_e32 v39, 31, v38
	v_lshlrev_b64 v[38:39], 4, v[38:39]
	v_add_co_u32_e32 v48, vcc, s20, v38
	v_addc_co_u32_e32 v49, vcc, v34, v39, vcc
	global_load_dwordx4 v[38:41], v[46:47], off
	global_load_dwordx4 v[42:45], v[48:49], off
	s_waitcnt vmcnt(0)
	v_fmac_f64_e32 v[26:27], v[38:39], v[42:43]
	v_fmac_f64_e32 v[22:23], v[40:41], v[42:43]
	;; [unrolled: 1-line block ×3, first 2 shown]
	v_fma_f64 v[22:23], v[38:39], -v[44:45], v[22:23]
	s_branch .LBB50_22
.LBB50_31:                              ;   in Loop: Header=BB50_17 Depth=1
	s_or_b64 exec, exec, s[26:27]
.LBB50_32:                              ;   in Loop: Header=BB50_17 Depth=1
	s_or_b64 exec, exec, s[24:25]
	v_mov_b32_dpp v24, v26 row_shr:1 row_mask:0xf bank_mask:0xf
	v_mov_b32_dpp v25, v27 row_shr:1 row_mask:0xf bank_mask:0xf
	v_mov_b32_dpp v28, v22 row_shr:1 row_mask:0xf bank_mask:0xf
	v_mov_b32_dpp v29, v23 row_shr:1 row_mask:0xf bank_mask:0xf
	v_add_f64 v[24:25], v[26:27], v[24:25]
	v_add_f64 v[22:23], v[22:23], v[28:29]
	s_nop 0
	v_mov_b32_dpp v26, v24 row_shr:2 row_mask:0xf bank_mask:0xf
	v_mov_b32_dpp v27, v25 row_shr:2 row_mask:0xf bank_mask:0xf
	v_mov_b32_dpp v28, v22 row_shr:2 row_mask:0xf bank_mask:0xf
	v_mov_b32_dpp v29, v23 row_shr:2 row_mask:0xf bank_mask:0xf
	v_add_f64 v[24:25], v[24:25], v[26:27]
	v_add_f64 v[22:23], v[22:23], v[28:29]
	s_nop 0
	;; [unrolled: 7-line block ×4, first 2 shown]
	v_mov_b32_dpp v26, v24 row_bcast:15 row_mask:0xa bank_mask:0xf
	v_mov_b32_dpp v27, v25 row_bcast:15 row_mask:0xa bank_mask:0xf
	;; [unrolled: 1-line block ×4, first 2 shown]
	v_add_f64 v[24:25], v[24:25], v[26:27]
	v_add_f64 v[22:23], v[22:23], v[28:29]
	s_nop 0
	v_mov_b32_dpp v26, v24 row_bcast:31 row_mask:0xc bank_mask:0xf
	v_mov_b32_dpp v27, v25 row_bcast:31 row_mask:0xc bank_mask:0xf
	;; [unrolled: 1-line block ×4, first 2 shown]
	s_and_saveexec_b64 s[24:25], s[0:1]
	s_cbranch_execz .LBB50_15
; %bb.33:                               ;   in Loop: Header=BB50_17 Depth=1
	v_mul_f64 v[38:39], v[6:7], v[6:7]
	v_fmac_f64_e32 v[38:39], v[4:5], v[4:5]
	v_div_scale_f64 v[40:41], s[26:27], v[38:39], v[38:39], 1.0
	v_rcp_f64_e32 v[42:43], v[40:41]
	v_div_scale_f64 v[44:45], vcc, 1.0, v[38:39], 1.0
	v_fma_f64 v[46:47], -v[40:41], v[42:43], 1.0
	v_fmac_f64_e32 v[42:43], v[42:43], v[46:47]
	v_fma_f64 v[46:47], -v[40:41], v[42:43], 1.0
	v_fmac_f64_e32 v[42:43], v[42:43], v[46:47]
	v_mul_f64 v[46:47], v[44:45], v[42:43]
	v_fma_f64 v[40:41], -v[40:41], v[46:47], v[44:45]
	v_div_fmas_f64 v[40:41], v[40:41], v[42:43], v[46:47]
	v_div_fixup_f64 v[38:39], v[40:41], v[38:39], 1.0
	v_fma_f64 v[40:41], 0, v[6:7], v[4:5]
	v_fma_f64 v[4:5], v[4:5], 0, -v[6:7]
	v_add_f64 v[6:7], v[22:23], v[28:29]
	v_add_f64 v[22:23], v[24:25], v[26:27]
	v_mul_f64 v[4:5], v[4:5], v[38:39]
	v_add_f64 v[22:23], v[0:1], -v[22:23]
	v_add_f64 v[6:7], v[2:3], -v[6:7]
	v_mul_f64 v[40:41], v[40:41], v[38:39]
	v_mul_f64 v[0:1], v[4:5], -v[6:7]
	v_mul_f64 v[2:3], v[4:5], v[22:23]
	v_fmac_f64_e32 v[0:1], v[22:23], v[40:41]
	v_fmac_f64_e32 v[2:3], v[6:7], v[40:41]
	;; [unrolled: 1-line block ×5, first 2 shown]
	v_fma_f64 v[16:17], v[0:1], -v[2:3], v[16:17]
	global_store_dwordx4 v[20:21], v[0:3], off
	s_branch .LBB50_15
.LBB50_34:
	s_or_b64 exec, exec, s[10:11]
.LBB50_35:
	s_or_b64 exec, exec, s[6:7]
	v_cmp_eq_u32_e64 s[0:1], 63, v13
	v_cmp_lt_i32_e32 vcc, -1, v12
	s_and_b64 s[2:3], s[0:1], vcc
	s_and_saveexec_b64 s[6:7], s[2:3]
	s_cbranch_execz .LBB50_52
; %bb.36:
	v_mov_b32_e32 v13, 0
	v_lshlrev_b64 v[0:1], 4, v[12:13]
	v_mov_b32_e32 v2, s21
	v_add_co_u32_e32 v0, vcc, s20, v0
	v_addc_co_u32_e32 v1, vcc, v2, v1, vcc
	global_load_dwordx4 v[2:5], v[0:1], off
	s_load_dwordx2 s[2:3], s[4:5], 0x48
	s_waitcnt lgkmcnt(0)
	v_mul_f64 v[12:13], s[2:3], s[2:3]
	s_waitcnt vmcnt(0)
	v_add_f64 v[2:3], v[2:3], -v[18:19]
	v_add_f64 v[6:7], v[4:5], -v[16:17]
	v_cmp_le_f64_e32 vcc, v[2:3], v[12:13]
	v_cmp_eq_f64_e64 s[2:3], 0, v[6:7]
	s_and_b64 s[4:5], vcc, s[2:3]
	v_add_u32_e32 v12, s33, v10
	s_and_saveexec_b64 s[2:3], s[4:5]
	s_cbranch_execz .LBB50_41
; %bb.37:
	s_mov_b64 s[4:5], exec
	s_brev_b32 s10, -2
.LBB50_38:                              ; =>This Inner Loop Header: Depth=1
	s_ff1_i32_b64 s11, s[4:5]
	v_readlane_b32 s18, v12, s11
	s_lshl_b64 s[16:17], 1, s11
	s_min_i32 s10, s10, s18
	s_andn2_b64 s[4:5], s[4:5], s[16:17]
	s_cmp_lg_u64 s[4:5], 0
	s_cbranch_scc1 .LBB50_38
; %bb.39:
	v_mbcnt_lo_u32_b32 v4, exec_lo, 0
	v_mbcnt_hi_u32_b32 v4, exec_hi, v4
	v_cmp_eq_u32_e32 vcc, 0, v4
	s_and_saveexec_b64 s[4:5], vcc
	s_xor_b64 s[4:5], exec, s[4:5]
	s_cbranch_execz .LBB50_41
; %bb.40:
	v_mov_b32_e32 v4, 0
	v_mov_b32_e32 v5, s10
	global_atomic_smin v4, v5, s[14:15]
.LBB50_41:
	s_or_b64 exec, exec, s[2:3]
	v_xor_b32_e32 v4, 0x80000000, v3
	v_cmp_gt_f64_e32 vcc, 0, v[2:3]
	v_cndmask_b32_e32 v3, v3, v4, vcc
	v_cndmask_b32_e32 v2, v2, v2, vcc
	v_xor_b32_e32 v4, 0x80000000, v7
	v_cmp_gt_f64_e32 vcc, 0, v[6:7]
	v_cndmask_b32_e32 v5, v7, v4, vcc
	v_cndmask_b32_e32 v4, v6, v6, vcc
	v_cmp_ngt_f64_e32 vcc, v[2:3], v[4:5]
                                        ; implicit-def: $vgpr10_vgpr11
	s_and_saveexec_b64 s[2:3], vcc
	s_xor_b64 s[2:3], exec, s[2:3]
	s_cbranch_execz .LBB50_45
; %bb.42:
	v_cmp_neq_f64_e32 vcc, 0, v[6:7]
	v_pk_mov_b32 v[10:11], 0, 0
	s_and_saveexec_b64 s[4:5], vcc
	s_cbranch_execz .LBB50_44
; %bb.43:
	v_div_scale_f64 v[6:7], s[10:11], v[4:5], v[4:5], v[2:3]
	v_rcp_f64_e32 v[10:11], v[6:7]
	v_div_scale_f64 v[14:15], vcc, v[2:3], v[4:5], v[2:3]
	s_mov_b32 s10, 0
	v_fma_f64 v[16:17], -v[6:7], v[10:11], 1.0
	v_fmac_f64_e32 v[10:11], v[10:11], v[16:17]
	v_fma_f64 v[16:17], -v[6:7], v[10:11], 1.0
	v_fmac_f64_e32 v[10:11], v[10:11], v[16:17]
	v_mul_f64 v[16:17], v[14:15], v[10:11]
	v_fma_f64 v[6:7], -v[6:7], v[16:17], v[14:15]
	v_div_fmas_f64 v[6:7], v[6:7], v[10:11], v[16:17]
	v_div_fixup_f64 v[2:3], v[6:7], v[4:5], v[2:3]
	v_fma_f64 v[2:3], v[2:3], v[2:3], 1.0
	s_brev_b32 s11, 8
	v_cmp_gt_f64_e32 vcc, s[10:11], v[2:3]
	v_cndmask_b32_e64 v6, 0, 1, vcc
	v_lshlrev_b32_e32 v6, 8, v6
	v_ldexp_f64 v[2:3], v[2:3], v6
	v_rsq_f64_e32 v[6:7], v[2:3]
	v_mul_f64 v[10:11], v[2:3], v[6:7]
	v_mul_f64 v[6:7], v[6:7], 0.5
	v_fma_f64 v[14:15], -v[6:7], v[10:11], 0.5
	v_fmac_f64_e32 v[10:11], v[10:11], v[14:15]
	v_fma_f64 v[16:17], -v[10:11], v[10:11], v[2:3]
	v_fmac_f64_e32 v[6:7], v[6:7], v[14:15]
	v_fmac_f64_e32 v[10:11], v[16:17], v[6:7]
	v_fma_f64 v[14:15], -v[10:11], v[10:11], v[2:3]
	v_fmac_f64_e32 v[10:11], v[14:15], v[6:7]
	v_mov_b32_e32 v6, 0xffffff80
	v_cndmask_b32_e32 v6, 0, v6, vcc
	v_ldexp_f64 v[6:7], v[10:11], v6
	v_mov_b32_e32 v10, 0x260
	v_cmp_class_f64_e32 vcc, v[2:3], v10
	v_cndmask_b32_e32 v3, v7, v3, vcc
	v_cndmask_b32_e32 v2, v6, v2, vcc
	v_mul_f64 v[10:11], v[4:5], v[2:3]
.LBB50_44:
	s_or_b64 exec, exec, s[4:5]
                                        ; implicit-def: $vgpr2_vgpr3
                                        ; implicit-def: $vgpr4_vgpr5
.LBB50_45:
	s_andn2_saveexec_b64 s[2:3], s[2:3]
	s_cbranch_execz .LBB50_47
; %bb.46:
	v_div_scale_f64 v[6:7], s[4:5], v[2:3], v[2:3], v[4:5]
	v_rcp_f64_e32 v[10:11], v[6:7]
	v_div_scale_f64 v[14:15], vcc, v[4:5], v[2:3], v[4:5]
	s_mov_b32 s4, 0
	v_fma_f64 v[16:17], -v[6:7], v[10:11], 1.0
	v_fmac_f64_e32 v[10:11], v[10:11], v[16:17]
	v_fma_f64 v[16:17], -v[6:7], v[10:11], 1.0
	v_fmac_f64_e32 v[10:11], v[10:11], v[16:17]
	v_mul_f64 v[16:17], v[14:15], v[10:11]
	v_fma_f64 v[6:7], -v[6:7], v[16:17], v[14:15]
	v_div_fmas_f64 v[6:7], v[6:7], v[10:11], v[16:17]
	v_div_fixup_f64 v[4:5], v[6:7], v[2:3], v[4:5]
	v_fma_f64 v[4:5], v[4:5], v[4:5], 1.0
	s_brev_b32 s5, 8
	v_cmp_gt_f64_e32 vcc, s[4:5], v[4:5]
	v_cndmask_b32_e64 v6, 0, 1, vcc
	v_lshlrev_b32_e32 v6, 8, v6
	v_ldexp_f64 v[4:5], v[4:5], v6
	v_rsq_f64_e32 v[6:7], v[4:5]
	v_mul_f64 v[10:11], v[4:5], v[6:7]
	v_mul_f64 v[6:7], v[6:7], 0.5
	v_fma_f64 v[14:15], -v[6:7], v[10:11], 0.5
	v_fmac_f64_e32 v[10:11], v[10:11], v[14:15]
	v_fma_f64 v[16:17], -v[10:11], v[10:11], v[4:5]
	v_fmac_f64_e32 v[6:7], v[6:7], v[14:15]
	v_fmac_f64_e32 v[10:11], v[16:17], v[6:7]
	v_fma_f64 v[14:15], -v[10:11], v[10:11], v[4:5]
	v_fmac_f64_e32 v[10:11], v[14:15], v[6:7]
	v_mov_b32_e32 v6, 0xffffff80
	v_cndmask_b32_e32 v6, 0, v6, vcc
	v_ldexp_f64 v[6:7], v[10:11], v6
	v_mov_b32_e32 v10, 0x260
	v_cmp_class_f64_e32 vcc, v[4:5], v10
	v_cndmask_b32_e32 v5, v7, v5, vcc
	v_cndmask_b32_e32 v4, v6, v4, vcc
	v_mul_f64 v[10:11], v[2:3], v[4:5]
.LBB50_47:
	s_or_b64 exec, exec, s[2:3]
	s_mov_b32 s2, 0
	s_brev_b32 s3, 8
	v_cmp_gt_f64_e32 vcc, s[2:3], v[10:11]
	v_cndmask_b32_e64 v2, 0, 1, vcc
	v_lshlrev_b32_e32 v2, 8, v2
	v_ldexp_f64 v[2:3], v[10:11], v2
	v_rsq_f64_e32 v[4:5], v[2:3]
	v_mul_f64 v[6:7], v[2:3], v[4:5]
	v_mul_f64 v[4:5], v[4:5], 0.5
	v_fma_f64 v[10:11], -v[4:5], v[6:7], 0.5
	v_fmac_f64_e32 v[6:7], v[6:7], v[10:11]
	v_fma_f64 v[14:15], -v[6:7], v[6:7], v[2:3]
	v_fmac_f64_e32 v[4:5], v[4:5], v[10:11]
	v_fmac_f64_e32 v[6:7], v[14:15], v[4:5]
	v_fma_f64 v[10:11], -v[6:7], v[6:7], v[2:3]
	v_fmac_f64_e32 v[6:7], v[10:11], v[4:5]
	v_mov_b32_e32 v5, 0xffffff80
	v_cndmask_b32_e32 v5, 0, v5, vcc
	v_ldexp_f64 v[6:7], v[6:7], v5
	v_mov_b32_e32 v5, 0x260
	v_cmp_class_f64_e32 vcc, v[2:3], v5
	v_mov_b32_e32 v4, 0
	v_cndmask_b32_e32 v3, v7, v3, vcc
	v_cndmask_b32_e32 v2, v6, v2, vcc
	v_mov_b32_e32 v5, v4
	v_cmp_eq_f64_e32 vcc, 0, v[2:3]
	global_store_dwordx4 v[0:1], v[2:5], off
	s_and_b64 exec, exec, vcc
	s_cbranch_execz .LBB50_52
; %bb.48:
	s_mov_b64 s[2:3], exec
	s_brev_b32 s4, -2
.LBB50_49:                              ; =>This Inner Loop Header: Depth=1
	s_ff1_i32_b64 s5, s[2:3]
	v_readlane_b32 s14, v12, s5
	s_lshl_b64 s[10:11], 1, s5
	s_min_i32 s4, s4, s14
	s_andn2_b64 s[2:3], s[2:3], s[10:11]
	s_cmp_lg_u64 s[2:3], 0
	s_cbranch_scc1 .LBB50_49
; %bb.50:
	v_mbcnt_lo_u32_b32 v0, exec_lo, 0
	v_mbcnt_hi_u32_b32 v0, exec_hi, v0
	v_cmp_eq_u32_e32 vcc, 0, v0
	s_and_saveexec_b64 s[2:3], vcc
	s_xor_b64 s[2:3], exec, s[2:3]
	s_cbranch_execz .LBB50_52
; %bb.51:
	v_mov_b32_e32 v0, 0
	v_mov_b32_e32 v1, s4
	global_atomic_smin v0, v1, s[12:13]
.LBB50_52:
	s_or_b64 exec, exec, s[6:7]
	s_and_b64 exec, exec, s[0:1]
	s_cbranch_execz .LBB50_54
; %bb.53:
	v_mov_b32_e32 v1, s9
	v_add_co_u32_e32 v0, vcc, s8, v8
	v_addc_co_u32_e32 v1, vcc, v1, v9, vcc
	v_mov_b32_e32 v2, 1
	s_waitcnt vmcnt(0)
	global_store_dword v[0:1], v2, off
.LBB50_54:
	s_endpgm
	.section	.rodata,"a",@progbits
	.p2align	6, 0x0
	.amdhsa_kernel _ZN9rocsparseL18csric0_hash_kernelILj256ELj64ELj16E21rocsparse_complex_numIdEEEviPKiS4_PT2_S4_PiS4_S7_S7_d21rocsparse_index_base_
		.amdhsa_group_segment_fixed_size 32768
		.amdhsa_private_segment_fixed_size 0
		.amdhsa_kernarg_size 84
		.amdhsa_user_sgpr_count 6
		.amdhsa_user_sgpr_private_segment_buffer 1
		.amdhsa_user_sgpr_dispatch_ptr 0
		.amdhsa_user_sgpr_queue_ptr 0
		.amdhsa_user_sgpr_kernarg_segment_ptr 1
		.amdhsa_user_sgpr_dispatch_id 0
		.amdhsa_user_sgpr_flat_scratch_init 0
		.amdhsa_user_sgpr_kernarg_preload_length 0
		.amdhsa_user_sgpr_kernarg_preload_offset 0
		.amdhsa_user_sgpr_private_segment_size 0
		.amdhsa_uses_dynamic_stack 0
		.amdhsa_system_sgpr_private_segment_wavefront_offset 0
		.amdhsa_system_sgpr_workgroup_id_x 1
		.amdhsa_system_sgpr_workgroup_id_y 0
		.amdhsa_system_sgpr_workgroup_id_z 0
		.amdhsa_system_sgpr_workgroup_info 0
		.amdhsa_system_vgpr_workitem_id 0
		.amdhsa_next_free_vgpr 50
		.amdhsa_next_free_sgpr 44
		.amdhsa_accum_offset 52
		.amdhsa_reserve_vcc 1
		.amdhsa_reserve_flat_scratch 0
		.amdhsa_float_round_mode_32 0
		.amdhsa_float_round_mode_16_64 0
		.amdhsa_float_denorm_mode_32 3
		.amdhsa_float_denorm_mode_16_64 3
		.amdhsa_dx10_clamp 1
		.amdhsa_ieee_mode 1
		.amdhsa_fp16_overflow 0
		.amdhsa_tg_split 0
		.amdhsa_exception_fp_ieee_invalid_op 0
		.amdhsa_exception_fp_denorm_src 0
		.amdhsa_exception_fp_ieee_div_zero 0
		.amdhsa_exception_fp_ieee_overflow 0
		.amdhsa_exception_fp_ieee_underflow 0
		.amdhsa_exception_fp_ieee_inexact 0
		.amdhsa_exception_int_div_zero 0
	.end_amdhsa_kernel
	.section	.text._ZN9rocsparseL18csric0_hash_kernelILj256ELj64ELj16E21rocsparse_complex_numIdEEEviPKiS4_PT2_S4_PiS4_S7_S7_d21rocsparse_index_base_,"axG",@progbits,_ZN9rocsparseL18csric0_hash_kernelILj256ELj64ELj16E21rocsparse_complex_numIdEEEviPKiS4_PT2_S4_PiS4_S7_S7_d21rocsparse_index_base_,comdat
.Lfunc_end50:
	.size	_ZN9rocsparseL18csric0_hash_kernelILj256ELj64ELj16E21rocsparse_complex_numIdEEEviPKiS4_PT2_S4_PiS4_S7_S7_d21rocsparse_index_base_, .Lfunc_end50-_ZN9rocsparseL18csric0_hash_kernelILj256ELj64ELj16E21rocsparse_complex_numIdEEEviPKiS4_PT2_S4_PiS4_S7_S7_d21rocsparse_index_base_
                                        ; -- End function
	.section	.AMDGPU.csdata,"",@progbits
; Kernel info:
; codeLenInByte = 2896
; NumSgprs: 48
; NumVgprs: 50
; NumAgprs: 0
; TotalNumVgprs: 50
; ScratchSize: 0
; MemoryBound: 0
; FloatMode: 240
; IeeeMode: 1
; LDSByteSize: 32768 bytes/workgroup (compile time only)
; SGPRBlocks: 5
; VGPRBlocks: 6
; NumSGPRsForWavesPerEU: 48
; NumVGPRsForWavesPerEU: 50
; AccumOffset: 52
; Occupancy: 2
; WaveLimiterHint : 1
; COMPUTE_PGM_RSRC2:SCRATCH_EN: 0
; COMPUTE_PGM_RSRC2:USER_SGPR: 6
; COMPUTE_PGM_RSRC2:TRAP_HANDLER: 0
; COMPUTE_PGM_RSRC2:TGID_X_EN: 1
; COMPUTE_PGM_RSRC2:TGID_Y_EN: 0
; COMPUTE_PGM_RSRC2:TGID_Z_EN: 0
; COMPUTE_PGM_RSRC2:TIDIG_COMP_CNT: 0
; COMPUTE_PGM_RSRC3_GFX90A:ACCUM_OFFSET: 12
; COMPUTE_PGM_RSRC3_GFX90A:TG_SPLIT: 0
	.section	.text._ZN9rocsparseL23csric0_binsearch_kernelILj256ELj64ELb0E21rocsparse_complex_numIdEEEviPKiS4_PT2_S4_PiS4_S7_S7_d21rocsparse_index_base_,"axG",@progbits,_ZN9rocsparseL23csric0_binsearch_kernelILj256ELj64ELb0E21rocsparse_complex_numIdEEEviPKiS4_PT2_S4_PiS4_S7_S7_d21rocsparse_index_base_,comdat
	.globl	_ZN9rocsparseL23csric0_binsearch_kernelILj256ELj64ELb0E21rocsparse_complex_numIdEEEviPKiS4_PT2_S4_PiS4_S7_S7_d21rocsparse_index_base_ ; -- Begin function _ZN9rocsparseL23csric0_binsearch_kernelILj256ELj64ELb0E21rocsparse_complex_numIdEEEviPKiS4_PT2_S4_PiS4_S7_S7_d21rocsparse_index_base_
	.p2align	8
	.type	_ZN9rocsparseL23csric0_binsearch_kernelILj256ELj64ELb0E21rocsparse_complex_numIdEEEviPKiS4_PT2_S4_PiS4_S7_S7_d21rocsparse_index_base_,@function
_ZN9rocsparseL23csric0_binsearch_kernelILj256ELj64ELb0E21rocsparse_complex_numIdEEEviPKiS4_PT2_S4_PiS4_S7_S7_d21rocsparse_index_base_: ; @_ZN9rocsparseL23csric0_binsearch_kernelILj256ELj64ELb0E21rocsparse_complex_numIdEEEviPKiS4_PT2_S4_PiS4_S7_S7_d21rocsparse_index_base_
; %bb.0:
	s_load_dword s0, s[4:5], 0x0
	s_lshl_b32 s1, s6, 2
	v_lshrrev_b32_e32 v1, 6, v0
	s_and_b32 s1, s1, 0x3fffffc
	v_or_b32_e32 v1, s1, v1
	s_waitcnt lgkmcnt(0)
	v_cmp_gt_i32_e32 vcc, s0, v1
	s_and_saveexec_b64 s[0:1], vcc
	s_cbranch_execz .LBB51_53
; %bb.1:
	s_load_dwordx8 s[8:15], s[4:5], 0x18
	v_lshlrev_b32_e32 v1, 2, v1
	v_pk_mov_b32 v[14:15], 0, 0
	s_mov_b64 s[20:21], 0
	v_pk_mov_b32 v[16:17], v[14:15], v[14:15] op_sel:[0,1]
	s_waitcnt lgkmcnt(0)
	global_load_dword v10, v1, s[14:15]
	s_load_dwordx2 s[14:15], s[4:5], 0x8
	v_mov_b32_e32 v1, s11
	s_waitcnt lgkmcnt(0)
	v_mov_b32_e32 v3, s15
	s_waitcnt vmcnt(0)
	v_ashrrev_i32_e32 v11, 31, v10
	v_lshlrev_b64 v[8:9], 2, v[10:11]
	v_add_co_u32_e32 v4, vcc, s10, v8
	v_addc_co_u32_e32 v5, vcc, v1, v9, vcc
	v_add_co_u32_e32 v2, vcc, s14, v8
	v_addc_co_u32_e32 v3, vcc, v3, v9, vcc
	global_load_dword v1, v[2:3], off
	global_load_dword v12, v[4:5], off
	s_load_dword s33, s[4:5], 0x50
	s_load_dwordx4 s[16:19], s[4:5], 0x38
	s_load_dwordx2 s[6:7], s[4:5], 0x48
	v_and_b32_e32 v11, 63, v0
	s_waitcnt vmcnt(1) lgkmcnt(0)
	v_subrev_u32_e32 v13, s33, v1
	s_waitcnt vmcnt(0)
	v_cmp_lt_i32_e32 vcc, v13, v12
	s_and_saveexec_b64 s[22:23], vcc
	s_cbranch_execz .LBB51_34
; %bb.2:
	global_load_dword v0, v[2:3], off offset:4
	s_load_dwordx2 s[24:25], s[4:5], 0x10
	v_pk_mov_b32 v[14:15], 0, 0
	v_add_u32_e32 v32, -1, v12
	v_cmp_eq_u32_e64 s[0:1], 0, v11
	v_subrev_u32_e32 v33, s33, v11
	v_cmp_eq_u32_e64 s[2:3], 63, v11
	v_mov_b32_e32 v34, s9
	v_mov_b32_e32 v35, s15
	;; [unrolled: 1-line block ×6, first 2 shown]
	s_waitcnt lgkmcnt(0)
	v_mov_b32_e32 v39, s25
	v_pk_mov_b32 v[16:17], v[14:15], v[14:15] op_sel:[0,1]
	s_waitcnt vmcnt(0)
	v_xad_u32 v40, s33, -1, v0
	s_branch .LBB51_5
.LBB51_3:                               ;   in Loop: Header=BB51_5 Depth=1
	s_or_b64 exec, exec, s[28:29]
.LBB51_4:                               ;   in Loop: Header=BB51_5 Depth=1
	s_or_b64 exec, exec, s[4:5]
	v_add_u32_e32 v18, 1, v18
	v_cmp_ge_i32_e32 vcc, v18, v12
	s_or_b64 s[4:5], s[26:27], vcc
	s_and_b64 s[4:5], exec, s[4:5]
	s_or_b64 s[20:21], s[4:5], s[20:21]
	s_andn2_b64 exec, exec, s[20:21]
	s_cbranch_execz .LBB51_33
.LBB51_5:                               ; =>This Loop Header: Depth=1
                                        ;     Child Loop BB51_7 Depth 2
                                        ;     Child Loop BB51_11 Depth 2
	;; [unrolled: 1-line block ×3, first 2 shown]
                                        ;       Child Loop BB51_19 Depth 3
                                        ;     Child Loop BB51_30 Depth 2
	v_ashrrev_i32_e32 v19, 31, v18
	v_lshlrev_b64 v[0:1], 2, v[18:19]
	v_add_co_u32_e32 v0, vcc, s24, v0
	v_addc_co_u32_e32 v1, vcc, v39, v1, vcc
	global_load_dword v24, v[0:1], off
	v_lshlrev_b64 v[0:1], 4, v[18:19]
	v_add_co_u32_e32 v20, vcc, s8, v0
	v_addc_co_u32_e32 v21, vcc, v34, v1, vcc
	global_load_dwordx4 v[0:3], v[20:21], off
	s_waitcnt vmcnt(1)
	v_subrev_u32_e32 v4, s33, v24
	v_ashrrev_i32_e32 v5, 31, v4
	v_lshlrev_b64 v[4:5], 2, v[4:5]
	v_add_co_u32_e32 v22, vcc, s14, v4
	v_addc_co_u32_e32 v23, vcc, v35, v5, vcc
	v_add_co_u32_e32 v26, vcc, s10, v4
	v_addc_co_u32_e32 v27, vcc, v36, v5, vcc
	v_add_co_u32_e32 v4, vcc, s12, v4
	v_addc_co_u32_e32 v5, vcc, v37, v5, vcc
	global_load_dword v19, v[22:23], off
	global_load_dword v6, v[26:27], off
	global_load_dword v7, v[4:5], off glc
	s_waitcnt vmcnt(0)
	v_cmp_eq_u32_e32 vcc, 0, v7
	s_and_saveexec_b64 s[4:5], vcc
	s_cbranch_execz .LBB51_8
; %bb.6:                                ;   in Loop: Header=BB51_5 Depth=1
	s_mov_b64 s[26:27], 0
.LBB51_7:                               ;   Parent Loop BB51_5 Depth=1
                                        ; =>  This Inner Loop Header: Depth=2
	global_load_dword v7, v[4:5], off glc
	s_waitcnt vmcnt(0)
	v_cmp_ne_u32_e32 vcc, 0, v7
	s_or_b64 s[26:27], vcc, s[26:27]
	s_andn2_b64 exec, exec, s[26:27]
	s_cbranch_execnz .LBB51_7
.LBB51_8:                               ;   in Loop: Header=BB51_5 Depth=1
	s_or_b64 exec, exec, s[4:5]
	v_cmp_eq_u32_e32 vcc, -1, v6
	v_cndmask_b32_e32 v22, v6, v32, vcc
	v_ashrrev_i32_e32 v23, 31, v22
	v_lshlrev_b64 v[4:5], 4, v[22:23]
	v_add_co_u32_e32 v4, vcc, s8, v4
	v_addc_co_u32_e32 v5, vcc, v34, v5, vcc
	buffer_wbinvl1_vol
	global_load_dwordx4 v[4:7], v[4:5], off
	s_waitcnt vmcnt(0)
	v_cmp_eq_f64_e64 s[4:5], 0, v[4:5]
	v_cmp_eq_f64_e32 vcc, 0, v[6:7]
	s_and_b64 s[26:27], s[4:5], vcc
	s_xor_b64 s[4:5], s[26:27], -1
	s_and_saveexec_b64 s[28:29], s[4:5]
	s_xor_b64 s[28:29], exec, s[28:29]
	s_cbranch_execz .LBB51_27
; %bb.9:                                ;   in Loop: Header=BB51_5 Depth=1
	v_cmp_ge_f64_e64 s[4:5], s[6:7], v[4:5]
	s_and_b64 s[4:5], s[0:1], s[4:5]
	s_and_b64 s[30:31], vcc, s[4:5]
	s_and_saveexec_b64 s[4:5], s[30:31]
	s_cbranch_execz .LBB51_14
; %bb.10:                               ;   in Loop: Header=BB51_5 Depth=1
	s_mov_b64 s[30:31], exec
	s_brev_b32 s11, -2
.LBB51_11:                              ;   Parent Loop BB51_5 Depth=1
                                        ; =>  This Inner Loop Header: Depth=2
	s_ff1_i32_b64 s15, s[30:31]
	v_readlane_b32 s36, v24, s15
	s_lshl_b64 s[34:35], 1, s15
	s_min_i32 s11, s11, s36
	s_andn2_b64 s[30:31], s[30:31], s[34:35]
	s_cmp_lg_u64 s[30:31], 0
	s_cbranch_scc1 .LBB51_11
; %bb.12:                               ;   in Loop: Header=BB51_5 Depth=1
	v_mbcnt_lo_u32_b32 v23, exec_lo, 0
	v_mbcnt_hi_u32_b32 v23, exec_hi, v23
	v_cmp_eq_u32_e32 vcc, 0, v23
	s_and_saveexec_b64 s[30:31], vcc
	s_xor_b64 s[30:31], exec, s[30:31]
	s_cbranch_execz .LBB51_14
; %bb.13:                               ;   in Loop: Header=BB51_5 Depth=1
	v_mov_b32_e32 v23, s11
	global_atomic_smin v38, v23, s[18:19]
.LBB51_14:                              ;   in Loop: Header=BB51_5 Depth=1
	s_or_b64 exec, exec, s[4:5]
	v_add_u32_e32 v28, v33, v19
	v_pk_mov_b32 v[24:25], 0, 0
	v_cmp_lt_i32_e32 vcc, v28, v22
	v_pk_mov_b32 v[26:27], v[24:25], v[24:25] op_sel:[0,1]
	s_and_saveexec_b64 s[4:5], vcc
	s_cbranch_execz .LBB51_24
; %bb.15:                               ;   in Loop: Header=BB51_5 Depth=1
	v_pk_mov_b32 v[24:25], 0, 0
	s_mov_b64 s[30:31], 0
	v_mov_b32_e32 v19, v13
	v_pk_mov_b32 v[26:27], v[24:25], v[24:25] op_sel:[0,1]
	s_branch .LBB51_17
.LBB51_16:                              ;   in Loop: Header=BB51_17 Depth=2
	s_or_b64 exec, exec, s[34:35]
	v_add_u32_e32 v28, 64, v28
	v_cmp_ge_i32_e32 vcc, v28, v22
	s_or_b64 s[30:31], vcc, s[30:31]
	s_andn2_b64 exec, exec, s[30:31]
	s_cbranch_execz .LBB51_23
.LBB51_17:                              ;   Parent Loop BB51_5 Depth=1
                                        ; =>  This Loop Header: Depth=2
                                        ;       Child Loop BB51_19 Depth 3
	v_ashrrev_i32_e32 v29, 31, v28
	v_add_u32_e32 v23, v19, v40
	v_lshlrev_b64 v[30:31], 2, v[28:29]
	v_mov_b32_e32 v41, s25
	v_add_co_u32_e32 v42, vcc, s24, v30
	v_ashrrev_i32_e32 v30, 1, v23
	v_addc_co_u32_e32 v43, vcc, v41, v31, vcc
	v_ashrrev_i32_e32 v31, 31, v30
	v_lshlrev_b64 v[44:45], 2, v[30:31]
	v_add_co_u32_e32 v44, vcc, s24, v44
	v_addc_co_u32_e32 v45, vcc, v41, v45, vcc
	global_load_dword v23, v[42:43], off
	global_load_dword v41, v[44:45], off
	v_cmp_lt_i32_e32 vcc, v19, v40
	s_and_saveexec_b64 s[34:35], vcc
	s_cbranch_execz .LBB51_21
; %bb.18:                               ;   in Loop: Header=BB51_17 Depth=2
	s_mov_b64 s[36:37], 0
	v_mov_b32_e32 v42, v40
.LBB51_19:                              ;   Parent Loop BB51_5 Depth=1
                                        ;     Parent Loop BB51_17 Depth=2
                                        ; =>    This Inner Loop Header: Depth=3
	v_add_u32_e32 v31, 1, v30
	s_waitcnt vmcnt(0)
	v_cmp_lt_i32_e32 vcc, v41, v23
	v_cndmask_b32_e32 v42, v30, v42, vcc
	v_cndmask_b32_e32 v19, v19, v31, vcc
	v_add_u32_e32 v30, v42, v19
	v_ashrrev_i32_e32 v30, 1, v30
	v_ashrrev_i32_e32 v31, 31, v30
	v_lshlrev_b64 v[44:45], 2, v[30:31]
	v_mov_b32_e32 v41, s25
	v_add_co_u32_e32 v44, vcc, s24, v44
	v_addc_co_u32_e32 v45, vcc, v41, v45, vcc
	global_load_dword v41, v[44:45], off
	v_cmp_ge_i32_e32 vcc, v19, v42
	s_or_b64 s[36:37], vcc, s[36:37]
	s_andn2_b64 exec, exec, s[36:37]
	s_cbranch_execnz .LBB51_19
; %bb.20:                               ;   in Loop: Header=BB51_17 Depth=2
	s_or_b64 exec, exec, s[36:37]
.LBB51_21:                              ;   in Loop: Header=BB51_17 Depth=2
	s_or_b64 exec, exec, s[34:35]
	s_waitcnt vmcnt(0)
	v_cmp_eq_u32_e32 vcc, v41, v23
	s_and_saveexec_b64 s[34:35], vcc
	s_cbranch_execz .LBB51_16
; %bb.22:                               ;   in Loop: Header=BB51_17 Depth=2
	v_lshlrev_b64 v[42:43], 4, v[28:29]
	v_mov_b32_e32 v23, s9
	v_add_co_u32_e32 v50, vcc, s8, v42
	v_addc_co_u32_e32 v51, vcc, v23, v43, vcc
	v_lshlrev_b64 v[30:31], 4, v[30:31]
	v_add_co_u32_e32 v30, vcc, s8, v30
	v_addc_co_u32_e32 v31, vcc, v23, v31, vcc
	global_load_dwordx4 v[42:45], v[50:51], off
	global_load_dwordx4 v[46:49], v[30:31], off
	s_waitcnt vmcnt(0)
	v_fmac_f64_e32 v[26:27], v[42:43], v[46:47]
	v_fmac_f64_e32 v[24:25], v[44:45], v[46:47]
	;; [unrolled: 1-line block ×3, first 2 shown]
	v_fma_f64 v[24:25], v[42:43], -v[48:49], v[24:25]
	s_branch .LBB51_16
.LBB51_23:                              ;   in Loop: Header=BB51_5 Depth=1
	s_or_b64 exec, exec, s[30:31]
.LBB51_24:                              ;   in Loop: Header=BB51_5 Depth=1
	s_or_b64 exec, exec, s[4:5]
	v_mov_b32_dpp v22, v26 row_shr:1 row_mask:0xf bank_mask:0xf
	v_mov_b32_dpp v23, v27 row_shr:1 row_mask:0xf bank_mask:0xf
	v_mov_b32_dpp v28, v24 row_shr:1 row_mask:0xf bank_mask:0xf
	v_mov_b32_dpp v29, v25 row_shr:1 row_mask:0xf bank_mask:0xf
	v_add_f64 v[22:23], v[26:27], v[22:23]
	v_add_f64 v[24:25], v[24:25], v[28:29]
	s_nop 0
	v_mov_b32_dpp v26, v22 row_shr:2 row_mask:0xf bank_mask:0xf
	v_mov_b32_dpp v27, v23 row_shr:2 row_mask:0xf bank_mask:0xf
	v_mov_b32_dpp v28, v24 row_shr:2 row_mask:0xf bank_mask:0xf
	v_mov_b32_dpp v29, v25 row_shr:2 row_mask:0xf bank_mask:0xf
	v_add_f64 v[22:23], v[22:23], v[26:27]
	v_add_f64 v[24:25], v[24:25], v[28:29]
	s_nop 0
	v_mov_b32_dpp v26, v22 row_shr:4 row_mask:0xf bank_mask:0xe
	v_mov_b32_dpp v27, v23 row_shr:4 row_mask:0xf bank_mask:0xe
	v_mov_b32_dpp v28, v24 row_shr:4 row_mask:0xf bank_mask:0xe
	v_mov_b32_dpp v29, v25 row_shr:4 row_mask:0xf bank_mask:0xe
	v_add_f64 v[22:23], v[22:23], v[26:27]
	v_add_f64 v[24:25], v[24:25], v[28:29]
	s_nop 0
	v_mov_b32_dpp v26, v22 row_shr:8 row_mask:0xf bank_mask:0xc
	v_mov_b32_dpp v27, v23 row_shr:8 row_mask:0xf bank_mask:0xc
	v_mov_b32_dpp v28, v24 row_shr:8 row_mask:0xf bank_mask:0xc
	v_mov_b32_dpp v29, v25 row_shr:8 row_mask:0xf bank_mask:0xc
	v_add_f64 v[22:23], v[22:23], v[26:27]
	v_add_f64 v[24:25], v[24:25], v[28:29]
	s_nop 0
	v_mov_b32_dpp v26, v22 row_bcast:15 row_mask:0xa bank_mask:0xf
	v_mov_b32_dpp v27, v23 row_bcast:15 row_mask:0xa bank_mask:0xf
	;; [unrolled: 1-line block ×4, first 2 shown]
	v_add_f64 v[22:23], v[22:23], v[26:27]
	v_add_f64 v[24:25], v[24:25], v[28:29]
	s_nop 0
	v_mov_b32_dpp v26, v22 row_bcast:31 row_mask:0xc bank_mask:0xf
	v_mov_b32_dpp v27, v23 row_bcast:31 row_mask:0xc bank_mask:0xf
	;; [unrolled: 1-line block ×4, first 2 shown]
	s_and_saveexec_b64 s[4:5], s[2:3]
	s_cbranch_execz .LBB51_26
; %bb.25:                               ;   in Loop: Header=BB51_5 Depth=1
	v_mul_f64 v[30:31], v[6:7], v[6:7]
	v_fmac_f64_e32 v[30:31], v[4:5], v[4:5]
	v_div_scale_f64 v[42:43], s[30:31], v[30:31], v[30:31], 1.0
	v_rcp_f64_e32 v[44:45], v[42:43]
	v_div_scale_f64 v[46:47], vcc, 1.0, v[30:31], 1.0
	v_add_f64 v[22:23], v[22:23], v[26:27]
	v_fma_f64 v[48:49], -v[42:43], v[44:45], 1.0
	v_fmac_f64_e32 v[44:45], v[44:45], v[48:49]
	v_fma_f64 v[48:49], -v[42:43], v[44:45], 1.0
	v_fmac_f64_e32 v[44:45], v[44:45], v[48:49]
	v_mul_f64 v[48:49], v[46:47], v[44:45]
	v_fma_f64 v[42:43], -v[42:43], v[48:49], v[46:47]
	v_div_fmas_f64 v[42:43], v[42:43], v[44:45], v[48:49]
	v_div_fixup_f64 v[30:31], v[42:43], v[30:31], 1.0
	v_fma_f64 v[42:43], 0, v[6:7], v[4:5]
	v_fma_f64 v[4:5], v[4:5], 0, -v[6:7]
	v_add_f64 v[6:7], v[24:25], v[28:29]
	v_mul_f64 v[4:5], v[4:5], v[30:31]
	v_add_f64 v[22:23], v[0:1], -v[22:23]
	v_add_f64 v[6:7], v[2:3], -v[6:7]
	v_mul_f64 v[42:43], v[42:43], v[30:31]
	v_mul_f64 v[0:1], v[4:5], -v[6:7]
	v_mul_f64 v[2:3], v[4:5], v[22:23]
	v_fmac_f64_e32 v[0:1], v[22:23], v[42:43]
	v_fmac_f64_e32 v[2:3], v[6:7], v[42:43]
	;; [unrolled: 1-line block ×5, first 2 shown]
	v_fma_f64 v[14:15], v[0:1], -v[2:3], v[14:15]
	global_store_dwordx4 v[20:21], v[0:3], off
.LBB51_26:                              ;   in Loop: Header=BB51_5 Depth=1
	s_or_b64 exec, exec, s[4:5]
                                        ; implicit-def: $vgpr24
.LBB51_27:                              ;   in Loop: Header=BB51_5 Depth=1
	s_andn2_saveexec_b64 s[4:5], s[28:29]
	s_cbranch_execz .LBB51_4
; %bb.28:                               ;   in Loop: Header=BB51_5 Depth=1
	s_and_saveexec_b64 s[28:29], s[0:1]
	s_cbranch_execz .LBB51_3
; %bb.29:                               ;   in Loop: Header=BB51_5 Depth=1
	s_mov_b64 s[30:31], exec
	s_brev_b32 s11, -2
.LBB51_30:                              ;   Parent Loop BB51_5 Depth=1
                                        ; =>  This Inner Loop Header: Depth=2
	s_ff1_i32_b64 s15, s[30:31]
	v_readlane_b32 s36, v24, s15
	s_lshl_b64 s[34:35], 1, s15
	s_min_i32 s11, s11, s36
	s_andn2_b64 s[30:31], s[30:31], s[34:35]
	s_cmp_lg_u64 s[30:31], 0
	s_cbranch_scc1 .LBB51_30
; %bb.31:                               ;   in Loop: Header=BB51_5 Depth=1
	v_mbcnt_lo_u32_b32 v0, exec_lo, 0
	v_mbcnt_hi_u32_b32 v0, exec_hi, v0
	v_cmp_eq_u32_e32 vcc, 0, v0
	s_and_saveexec_b64 s[30:31], vcc
	s_xor_b64 s[30:31], exec, s[30:31]
	s_cbranch_execz .LBB51_3
; %bb.32:                               ;   in Loop: Header=BB51_5 Depth=1
	v_mov_b32_e32 v0, s11
	global_atomic_smin v38, v0, s[16:17]
	s_branch .LBB51_3
.LBB51_33:
	s_or_b64 exec, exec, s[20:21]
.LBB51_34:
	s_or_b64 exec, exec, s[22:23]
	v_cmp_eq_u32_e64 s[0:1], 63, v11
	v_cmp_lt_i32_e32 vcc, -1, v12
	s_and_b64 s[2:3], s[0:1], vcc
	s_and_saveexec_b64 s[10:11], s[2:3]
	s_cbranch_execz .LBB51_51
; %bb.35:
	v_mov_b32_e32 v13, 0
	v_lshlrev_b64 v[0:1], 4, v[12:13]
	v_mov_b32_e32 v2, s9
	v_add_co_u32_e32 v0, vcc, s8, v0
	v_addc_co_u32_e32 v1, vcc, v2, v1, vcc
	global_load_dwordx4 v[2:5], v[0:1], off
	v_mul_f64 v[6:7], s[6:7], s[6:7]
	v_add_u32_e32 v10, s33, v10
	s_waitcnt vmcnt(0)
	v_add_f64 v[2:3], v[2:3], -v[16:17]
	v_add_f64 v[4:5], v[4:5], -v[14:15]
	v_cmp_eq_f64_e64 s[2:3], 0, v[4:5]
	v_cmp_le_f64_e64 s[4:5], v[2:3], v[6:7]
	v_cmp_neq_f64_e32 vcc, 0, v[4:5]
	s_and_b64 s[2:3], s[2:3], s[4:5]
	s_and_saveexec_b64 s[4:5], s[2:3]
	s_cbranch_execz .LBB51_40
; %bb.36:
	s_mov_b64 s[2:3], exec
	s_brev_b32 s6, -2
.LBB51_37:                              ; =>This Inner Loop Header: Depth=1
	s_ff1_i32_b64 s7, s[2:3]
	v_readlane_b32 s14, v10, s7
	s_lshl_b64 s[8:9], 1, s7
	s_min_i32 s6, s6, s14
	s_andn2_b64 s[2:3], s[2:3], s[8:9]
	s_cmp_lg_u64 s[2:3], 0
	s_cbranch_scc1 .LBB51_37
; %bb.38:
	v_mbcnt_lo_u32_b32 v6, exec_lo, 0
	v_mbcnt_hi_u32_b32 v6, exec_hi, v6
	v_cmp_eq_u32_e64 s[2:3], 0, v6
	s_and_saveexec_b64 s[8:9], s[2:3]
	s_xor_b64 s[8:9], exec, s[8:9]
	s_cbranch_execz .LBB51_40
; %bb.39:
	v_mov_b32_e32 v6, 0
	v_mov_b32_e32 v7, s6
	global_atomic_smin v6, v7, s[18:19]
.LBB51_40:
	s_or_b64 exec, exec, s[4:5]
	v_xor_b32_e32 v6, 0x80000000, v3
	v_cmp_gt_f64_e64 s[2:3], 0, v[2:3]
	v_cndmask_b32_e64 v3, v3, v6, s[2:3]
	v_cndmask_b32_e64 v2, v2, v2, s[2:3]
	v_xor_b32_e32 v6, 0x80000000, v5
	v_cmp_gt_f64_e64 s[2:3], 0, v[4:5]
	v_cndmask_b32_e64 v5, v5, v6, s[2:3]
	v_cndmask_b32_e64 v4, v4, v4, s[2:3]
	v_cmp_ngt_f64_e64 s[2:3], v[2:3], v[4:5]
                                        ; implicit-def: $vgpr6_vgpr7
	s_and_saveexec_b64 s[4:5], s[2:3]
	s_xor_b64 s[2:3], exec, s[4:5]
	s_cbranch_execz .LBB51_44
; %bb.41:
	v_pk_mov_b32 v[6:7], 0, 0
	s_and_saveexec_b64 s[4:5], vcc
	s_cbranch_execz .LBB51_43
; %bb.42:
	v_div_scale_f64 v[6:7], s[6:7], v[4:5], v[4:5], v[2:3]
	v_rcp_f64_e32 v[12:13], v[6:7]
	v_div_scale_f64 v[14:15], vcc, v[2:3], v[4:5], v[2:3]
	s_mov_b32 s6, 0
	v_fma_f64 v[16:17], -v[6:7], v[12:13], 1.0
	v_fmac_f64_e32 v[12:13], v[12:13], v[16:17]
	v_fma_f64 v[16:17], -v[6:7], v[12:13], 1.0
	v_fmac_f64_e32 v[12:13], v[12:13], v[16:17]
	v_mul_f64 v[16:17], v[14:15], v[12:13]
	v_fma_f64 v[6:7], -v[6:7], v[16:17], v[14:15]
	v_div_fmas_f64 v[6:7], v[6:7], v[12:13], v[16:17]
	v_div_fixup_f64 v[2:3], v[6:7], v[4:5], v[2:3]
	v_fma_f64 v[2:3], v[2:3], v[2:3], 1.0
	s_brev_b32 s7, 8
	v_cmp_gt_f64_e32 vcc, s[6:7], v[2:3]
	v_cndmask_b32_e64 v6, 0, 1, vcc
	v_lshlrev_b32_e32 v6, 8, v6
	v_ldexp_f64 v[2:3], v[2:3], v6
	v_rsq_f64_e32 v[6:7], v[2:3]
	v_mov_b32_e32 v11, 0x260
	v_mul_f64 v[12:13], v[2:3], v[6:7]
	v_mul_f64 v[6:7], v[6:7], 0.5
	v_fma_f64 v[14:15], -v[6:7], v[12:13], 0.5
	v_fmac_f64_e32 v[12:13], v[12:13], v[14:15]
	v_fma_f64 v[16:17], -v[12:13], v[12:13], v[2:3]
	v_fmac_f64_e32 v[6:7], v[6:7], v[14:15]
	v_fmac_f64_e32 v[12:13], v[16:17], v[6:7]
	v_fma_f64 v[14:15], -v[12:13], v[12:13], v[2:3]
	v_fmac_f64_e32 v[12:13], v[14:15], v[6:7]
	v_mov_b32_e32 v6, 0xffffff80
	v_cndmask_b32_e32 v6, 0, v6, vcc
	v_ldexp_f64 v[6:7], v[12:13], v6
	v_cmp_class_f64_e32 vcc, v[2:3], v11
	v_cndmask_b32_e32 v3, v7, v3, vcc
	v_cndmask_b32_e32 v2, v6, v2, vcc
	v_mul_f64 v[6:7], v[4:5], v[2:3]
.LBB51_43:
	s_or_b64 exec, exec, s[4:5]
                                        ; implicit-def: $vgpr2_vgpr3
                                        ; implicit-def: $vgpr4_vgpr5
.LBB51_44:
	s_andn2_saveexec_b64 s[2:3], s[2:3]
	s_cbranch_execz .LBB51_46
; %bb.45:
	v_div_scale_f64 v[6:7], s[4:5], v[2:3], v[2:3], v[4:5]
	v_rcp_f64_e32 v[12:13], v[6:7]
	v_div_scale_f64 v[14:15], vcc, v[4:5], v[2:3], v[4:5]
	s_mov_b32 s4, 0
	v_fma_f64 v[16:17], -v[6:7], v[12:13], 1.0
	v_fmac_f64_e32 v[12:13], v[12:13], v[16:17]
	v_fma_f64 v[16:17], -v[6:7], v[12:13], 1.0
	v_fmac_f64_e32 v[12:13], v[12:13], v[16:17]
	v_mul_f64 v[16:17], v[14:15], v[12:13]
	v_fma_f64 v[6:7], -v[6:7], v[16:17], v[14:15]
	v_div_fmas_f64 v[6:7], v[6:7], v[12:13], v[16:17]
	v_div_fixup_f64 v[4:5], v[6:7], v[2:3], v[4:5]
	v_fma_f64 v[4:5], v[4:5], v[4:5], 1.0
	s_brev_b32 s5, 8
	v_cmp_gt_f64_e32 vcc, s[4:5], v[4:5]
	v_cndmask_b32_e64 v6, 0, 1, vcc
	v_lshlrev_b32_e32 v6, 8, v6
	v_ldexp_f64 v[4:5], v[4:5], v6
	v_rsq_f64_e32 v[6:7], v[4:5]
	v_mov_b32_e32 v11, 0x260
	v_mul_f64 v[12:13], v[4:5], v[6:7]
	v_mul_f64 v[6:7], v[6:7], 0.5
	v_fma_f64 v[14:15], -v[6:7], v[12:13], 0.5
	v_fmac_f64_e32 v[12:13], v[12:13], v[14:15]
	v_fma_f64 v[16:17], -v[12:13], v[12:13], v[4:5]
	v_fmac_f64_e32 v[6:7], v[6:7], v[14:15]
	v_fmac_f64_e32 v[12:13], v[16:17], v[6:7]
	v_fma_f64 v[14:15], -v[12:13], v[12:13], v[4:5]
	v_fmac_f64_e32 v[12:13], v[14:15], v[6:7]
	v_mov_b32_e32 v6, 0xffffff80
	v_cndmask_b32_e32 v6, 0, v6, vcc
	v_ldexp_f64 v[6:7], v[12:13], v6
	v_cmp_class_f64_e32 vcc, v[4:5], v11
	v_cndmask_b32_e32 v5, v7, v5, vcc
	v_cndmask_b32_e32 v4, v6, v4, vcc
	v_mul_f64 v[6:7], v[2:3], v[4:5]
.LBB51_46:
	s_or_b64 exec, exec, s[2:3]
	s_mov_b32 s2, 0
	s_brev_b32 s3, 8
	v_cmp_gt_f64_e32 vcc, s[2:3], v[6:7]
	v_cndmask_b32_e64 v2, 0, 1, vcc
	v_lshlrev_b32_e32 v2, 8, v2
	v_ldexp_f64 v[2:3], v[6:7], v2
	v_rsq_f64_e32 v[4:5], v[2:3]
	v_mul_f64 v[6:7], v[2:3], v[4:5]
	v_mul_f64 v[4:5], v[4:5], 0.5
	v_fma_f64 v[12:13], -v[4:5], v[6:7], 0.5
	v_fmac_f64_e32 v[6:7], v[6:7], v[12:13]
	v_fma_f64 v[14:15], -v[6:7], v[6:7], v[2:3]
	v_fmac_f64_e32 v[4:5], v[4:5], v[12:13]
	v_fmac_f64_e32 v[6:7], v[14:15], v[4:5]
	v_fma_f64 v[12:13], -v[6:7], v[6:7], v[2:3]
	v_fmac_f64_e32 v[6:7], v[12:13], v[4:5]
	v_mov_b32_e32 v5, 0xffffff80
	v_cndmask_b32_e32 v5, 0, v5, vcc
	v_ldexp_f64 v[6:7], v[6:7], v5
	v_mov_b32_e32 v5, 0x260
	v_cmp_class_f64_e32 vcc, v[2:3], v5
	v_mov_b32_e32 v4, 0
	v_cndmask_b32_e32 v3, v7, v3, vcc
	v_cndmask_b32_e32 v2, v6, v2, vcc
	v_mov_b32_e32 v5, v4
	v_cmp_eq_f64_e32 vcc, 0, v[2:3]
	global_store_dwordx4 v[0:1], v[2:5], off
	s_and_b64 exec, exec, vcc
	s_cbranch_execz .LBB51_51
; %bb.47:
	s_mov_b64 s[2:3], exec
	s_brev_b32 s4, -2
.LBB51_48:                              ; =>This Inner Loop Header: Depth=1
	s_ff1_i32_b64 s5, s[2:3]
	v_readlane_b32 s8, v10, s5
	s_lshl_b64 s[6:7], 1, s5
	s_min_i32 s4, s4, s8
	s_andn2_b64 s[2:3], s[2:3], s[6:7]
	s_cmp_lg_u64 s[2:3], 0
	s_cbranch_scc1 .LBB51_48
; %bb.49:
	v_mbcnt_lo_u32_b32 v0, exec_lo, 0
	v_mbcnt_hi_u32_b32 v0, exec_hi, v0
	v_cmp_eq_u32_e32 vcc, 0, v0
	s_and_saveexec_b64 s[2:3], vcc
	s_xor_b64 s[2:3], exec, s[2:3]
	s_cbranch_execz .LBB51_51
; %bb.50:
	v_mov_b32_e32 v0, 0
	v_mov_b32_e32 v1, s4
	global_atomic_smin v0, v1, s[16:17]
.LBB51_51:
	s_or_b64 exec, exec, s[10:11]
	s_and_b64 exec, exec, s[0:1]
	s_cbranch_execz .LBB51_53
; %bb.52:
	v_mov_b32_e32 v1, s13
	v_add_co_u32_e32 v0, vcc, s12, v8
	v_addc_co_u32_e32 v1, vcc, v1, v9, vcc
	v_mov_b32_e32 v2, 1
	s_waitcnt vmcnt(0)
	global_store_dword v[0:1], v2, off
.LBB51_53:
	s_endpgm
	.section	.rodata,"a",@progbits
	.p2align	6, 0x0
	.amdhsa_kernel _ZN9rocsparseL23csric0_binsearch_kernelILj256ELj64ELb0E21rocsparse_complex_numIdEEEviPKiS4_PT2_S4_PiS4_S7_S7_d21rocsparse_index_base_
		.amdhsa_group_segment_fixed_size 0
		.amdhsa_private_segment_fixed_size 0
		.amdhsa_kernarg_size 84
		.amdhsa_user_sgpr_count 6
		.amdhsa_user_sgpr_private_segment_buffer 1
		.amdhsa_user_sgpr_dispatch_ptr 0
		.amdhsa_user_sgpr_queue_ptr 0
		.amdhsa_user_sgpr_kernarg_segment_ptr 1
		.amdhsa_user_sgpr_dispatch_id 0
		.amdhsa_user_sgpr_flat_scratch_init 0
		.amdhsa_user_sgpr_kernarg_preload_length 0
		.amdhsa_user_sgpr_kernarg_preload_offset 0
		.amdhsa_user_sgpr_private_segment_size 0
		.amdhsa_uses_dynamic_stack 0
		.amdhsa_system_sgpr_private_segment_wavefront_offset 0
		.amdhsa_system_sgpr_workgroup_id_x 1
		.amdhsa_system_sgpr_workgroup_id_y 0
		.amdhsa_system_sgpr_workgroup_id_z 0
		.amdhsa_system_sgpr_workgroup_info 0
		.amdhsa_system_vgpr_workitem_id 0
		.amdhsa_next_free_vgpr 52
		.amdhsa_next_free_sgpr 38
		.amdhsa_accum_offset 52
		.amdhsa_reserve_vcc 1
		.amdhsa_reserve_flat_scratch 0
		.amdhsa_float_round_mode_32 0
		.amdhsa_float_round_mode_16_64 0
		.amdhsa_float_denorm_mode_32 3
		.amdhsa_float_denorm_mode_16_64 3
		.amdhsa_dx10_clamp 1
		.amdhsa_ieee_mode 1
		.amdhsa_fp16_overflow 0
		.amdhsa_tg_split 0
		.amdhsa_exception_fp_ieee_invalid_op 0
		.amdhsa_exception_fp_denorm_src 0
		.amdhsa_exception_fp_ieee_div_zero 0
		.amdhsa_exception_fp_ieee_overflow 0
		.amdhsa_exception_fp_ieee_underflow 0
		.amdhsa_exception_fp_ieee_inexact 0
		.amdhsa_exception_int_div_zero 0
	.end_amdhsa_kernel
	.section	.text._ZN9rocsparseL23csric0_binsearch_kernelILj256ELj64ELb0E21rocsparse_complex_numIdEEEviPKiS4_PT2_S4_PiS4_S7_S7_d21rocsparse_index_base_,"axG",@progbits,_ZN9rocsparseL23csric0_binsearch_kernelILj256ELj64ELb0E21rocsparse_complex_numIdEEEviPKiS4_PT2_S4_PiS4_S7_S7_d21rocsparse_index_base_,comdat
.Lfunc_end51:
	.size	_ZN9rocsparseL23csric0_binsearch_kernelILj256ELj64ELb0E21rocsparse_complex_numIdEEEviPKiS4_PT2_S4_PiS4_S7_S7_d21rocsparse_index_base_, .Lfunc_end51-_ZN9rocsparseL23csric0_binsearch_kernelILj256ELj64ELb0E21rocsparse_complex_numIdEEEviPKiS4_PT2_S4_PiS4_S7_S7_d21rocsparse_index_base_
                                        ; -- End function
	.section	.AMDGPU.csdata,"",@progbits
; Kernel info:
; codeLenInByte = 2764
; NumSgprs: 42
; NumVgprs: 52
; NumAgprs: 0
; TotalNumVgprs: 52
; ScratchSize: 0
; MemoryBound: 1
; FloatMode: 240
; IeeeMode: 1
; LDSByteSize: 0 bytes/workgroup (compile time only)
; SGPRBlocks: 5
; VGPRBlocks: 6
; NumSGPRsForWavesPerEU: 42
; NumVGPRsForWavesPerEU: 52
; AccumOffset: 52
; Occupancy: 8
; WaveLimiterHint : 1
; COMPUTE_PGM_RSRC2:SCRATCH_EN: 0
; COMPUTE_PGM_RSRC2:USER_SGPR: 6
; COMPUTE_PGM_RSRC2:TRAP_HANDLER: 0
; COMPUTE_PGM_RSRC2:TGID_X_EN: 1
; COMPUTE_PGM_RSRC2:TGID_Y_EN: 0
; COMPUTE_PGM_RSRC2:TGID_Z_EN: 0
; COMPUTE_PGM_RSRC2:TIDIG_COMP_CNT: 0
; COMPUTE_PGM_RSRC3_GFX90A:ACCUM_OFFSET: 12
; COMPUTE_PGM_RSRC3_GFX90A:TG_SPLIT: 0
	.text
	.p2alignl 6, 3212836864
	.fill 256, 4, 3212836864
	.type	__hip_cuid_b03ec53a16e51abb,@object ; @__hip_cuid_b03ec53a16e51abb
	.section	.bss,"aw",@nobits
	.globl	__hip_cuid_b03ec53a16e51abb
__hip_cuid_b03ec53a16e51abb:
	.byte	0                               ; 0x0
	.size	__hip_cuid_b03ec53a16e51abb, 1

	.ident	"AMD clang version 19.0.0git (https://github.com/RadeonOpenCompute/llvm-project roc-6.4.0 25133 c7fe45cf4b819c5991fe208aaa96edf142730f1d)"
	.section	".note.GNU-stack","",@progbits
	.addrsig
	.addrsig_sym __hip_cuid_b03ec53a16e51abb
	.amdgpu_metadata
---
amdhsa.kernels:
  - .agpr_count:     0
    .args:
      - .offset:         0
        .size:           4
        .value_kind:     by_value
      - .actual_access:  read_only
        .address_space:  global
        .offset:         8
        .size:           8
        .value_kind:     global_buffer
      - .actual_access:  read_only
        .address_space:  global
        .offset:         16
        .size:           8
        .value_kind:     global_buffer
      - .address_space:  global
        .offset:         24
        .size:           8
        .value_kind:     global_buffer
      - .actual_access:  read_only
        .address_space:  global
        .offset:         32
        .size:           8
        .value_kind:     global_buffer
      - .address_space:  global
        .offset:         40
        .size:           8
        .value_kind:     global_buffer
      - .actual_access:  read_only
        .address_space:  global
        .offset:         48
        .size:           8
        .value_kind:     global_buffer
      - .address_space:  global
        .offset:         56
        .size:           8
        .value_kind:     global_buffer
      - .address_space:  global
        .offset:         64
        .size:           8
        .value_kind:     global_buffer
      - .offset:         72
        .size:           8
        .value_kind:     by_value
      - .offset:         80
        .size:           4
        .value_kind:     by_value
    .group_segment_fixed_size: 0
    .kernarg_segment_align: 8
    .kernarg_segment_size: 84
    .language:       OpenCL C
    .language_version:
      - 2
      - 0
    .max_flat_workgroup_size: 256
    .name:           _ZN9rocsparseL23csric0_binsearch_kernelILj256ELj64ELb1EfEEviPKiS2_PT2_S2_PiS2_S5_S5_d21rocsparse_index_base_
    .private_segment_fixed_size: 0
    .sgpr_count:     42
    .sgpr_spill_count: 0
    .symbol:         _ZN9rocsparseL23csric0_binsearch_kernelILj256ELj64ELb1EfEEviPKiS2_PT2_S2_PiS2_S5_S5_d21rocsparse_index_base_.kd
    .uniform_work_group_size: 1
    .uses_dynamic_stack: false
    .vgpr_count:     36
    .vgpr_spill_count: 0
    .wavefront_size: 64
  - .agpr_count:     0
    .args:
      - .offset:         0
        .size:           4
        .value_kind:     by_value
      - .actual_access:  read_only
        .address_space:  global
        .offset:         8
        .size:           8
        .value_kind:     global_buffer
      - .actual_access:  read_only
        .address_space:  global
        .offset:         16
        .size:           8
        .value_kind:     global_buffer
      - .address_space:  global
        .offset:         24
        .size:           8
        .value_kind:     global_buffer
      - .actual_access:  read_only
        .address_space:  global
        .offset:         32
        .size:           8
        .value_kind:     global_buffer
      - .address_space:  global
        .offset:         40
        .size:           8
        .value_kind:     global_buffer
      - .actual_access:  read_only
        .address_space:  global
        .offset:         48
        .size:           8
        .value_kind:     global_buffer
      - .address_space:  global
        .offset:         56
        .size:           8
        .value_kind:     global_buffer
      - .address_space:  global
        .offset:         64
        .size:           8
        .value_kind:     global_buffer
      - .offset:         72
        .size:           8
        .value_kind:     by_value
      - .offset:         80
        .size:           4
        .value_kind:     by_value
    .group_segment_fixed_size: 2048
    .kernarg_segment_align: 8
    .kernarg_segment_size: 84
    .language:       OpenCL C
    .language_version:
      - 2
      - 0
    .max_flat_workgroup_size: 256
    .name:           _ZN9rocsparseL18csric0_hash_kernelILj256ELj32ELj1EfEEviPKiS2_PT2_S2_PiS2_S5_S5_d21rocsparse_index_base_
    .private_segment_fixed_size: 0
    .sgpr_count:     50
    .sgpr_spill_count: 0
    .symbol:         _ZN9rocsparseL18csric0_hash_kernelILj256ELj32ELj1EfEEviPKiS2_PT2_S2_PiS2_S5_S5_d21rocsparse_index_base_.kd
    .uniform_work_group_size: 1
    .uses_dynamic_stack: false
    .vgpr_count:     29
    .vgpr_spill_count: 0
    .wavefront_size: 64
  - .agpr_count:     0
    .args:
      - .offset:         0
        .size:           4
        .value_kind:     by_value
      - .actual_access:  read_only
        .address_space:  global
        .offset:         8
        .size:           8
        .value_kind:     global_buffer
      - .actual_access:  read_only
        .address_space:  global
        .offset:         16
        .size:           8
        .value_kind:     global_buffer
      - .address_space:  global
        .offset:         24
        .size:           8
        .value_kind:     global_buffer
      - .actual_access:  read_only
        .address_space:  global
        .offset:         32
        .size:           8
        .value_kind:     global_buffer
      - .address_space:  global
        .offset:         40
        .size:           8
        .value_kind:     global_buffer
      - .actual_access:  read_only
        .address_space:  global
        .offset:         48
        .size:           8
        .value_kind:     global_buffer
      - .address_space:  global
        .offset:         56
        .size:           8
        .value_kind:     global_buffer
      - .address_space:  global
        .offset:         64
        .size:           8
        .value_kind:     global_buffer
      - .offset:         72
        .size:           8
        .value_kind:     by_value
      - .offset:         80
        .size:           4
        .value_kind:     by_value
    .group_segment_fixed_size: 4096
    .kernarg_segment_align: 8
    .kernarg_segment_size: 84
    .language:       OpenCL C
    .language_version:
      - 2
      - 0
    .max_flat_workgroup_size: 256
    .name:           _ZN9rocsparseL18csric0_hash_kernelILj256ELj32ELj2EfEEviPKiS2_PT2_S2_PiS2_S5_S5_d21rocsparse_index_base_
    .private_segment_fixed_size: 0
    .sgpr_count:     50
    .sgpr_spill_count: 0
    .symbol:         _ZN9rocsparseL18csric0_hash_kernelILj256ELj32ELj2EfEEviPKiS2_PT2_S2_PiS2_S5_S5_d21rocsparse_index_base_.kd
    .uniform_work_group_size: 1
    .uses_dynamic_stack: false
    .vgpr_count:     29
    .vgpr_spill_count: 0
    .wavefront_size: 64
  - .agpr_count:     0
    .args:
      - .offset:         0
        .size:           4
        .value_kind:     by_value
      - .actual_access:  read_only
        .address_space:  global
        .offset:         8
        .size:           8
        .value_kind:     global_buffer
      - .actual_access:  read_only
        .address_space:  global
        .offset:         16
        .size:           8
        .value_kind:     global_buffer
      - .address_space:  global
        .offset:         24
        .size:           8
        .value_kind:     global_buffer
      - .actual_access:  read_only
        .address_space:  global
        .offset:         32
        .size:           8
        .value_kind:     global_buffer
      - .address_space:  global
        .offset:         40
        .size:           8
        .value_kind:     global_buffer
      - .actual_access:  read_only
        .address_space:  global
        .offset:         48
        .size:           8
        .value_kind:     global_buffer
      - .address_space:  global
        .offset:         56
        .size:           8
        .value_kind:     global_buffer
      - .address_space:  global
        .offset:         64
        .size:           8
        .value_kind:     global_buffer
      - .offset:         72
        .size:           8
        .value_kind:     by_value
      - .offset:         80
        .size:           4
        .value_kind:     by_value
    .group_segment_fixed_size: 8192
    .kernarg_segment_align: 8
    .kernarg_segment_size: 84
    .language:       OpenCL C
    .language_version:
      - 2
      - 0
    .max_flat_workgroup_size: 256
    .name:           _ZN9rocsparseL18csric0_hash_kernelILj256ELj32ELj4EfEEviPKiS2_PT2_S2_PiS2_S5_S5_d21rocsparse_index_base_
    .private_segment_fixed_size: 0
    .sgpr_count:     50
    .sgpr_spill_count: 0
    .symbol:         _ZN9rocsparseL18csric0_hash_kernelILj256ELj32ELj4EfEEviPKiS2_PT2_S2_PiS2_S5_S5_d21rocsparse_index_base_.kd
    .uniform_work_group_size: 1
    .uses_dynamic_stack: false
    .vgpr_count:     29
    .vgpr_spill_count: 0
    .wavefront_size: 64
  - .agpr_count:     0
    .args:
      - .offset:         0
        .size:           4
        .value_kind:     by_value
      - .actual_access:  read_only
        .address_space:  global
        .offset:         8
        .size:           8
        .value_kind:     global_buffer
      - .actual_access:  read_only
        .address_space:  global
        .offset:         16
        .size:           8
        .value_kind:     global_buffer
      - .address_space:  global
        .offset:         24
        .size:           8
        .value_kind:     global_buffer
      - .actual_access:  read_only
        .address_space:  global
        .offset:         32
        .size:           8
        .value_kind:     global_buffer
      - .address_space:  global
        .offset:         40
        .size:           8
        .value_kind:     global_buffer
      - .actual_access:  read_only
        .address_space:  global
        .offset:         48
        .size:           8
        .value_kind:     global_buffer
      - .address_space:  global
        .offset:         56
        .size:           8
        .value_kind:     global_buffer
      - .address_space:  global
        .offset:         64
        .size:           8
        .value_kind:     global_buffer
      - .offset:         72
        .size:           8
        .value_kind:     by_value
      - .offset:         80
        .size:           4
        .value_kind:     by_value
    .group_segment_fixed_size: 16384
    .kernarg_segment_align: 8
    .kernarg_segment_size: 84
    .language:       OpenCL C
    .language_version:
      - 2
      - 0
    .max_flat_workgroup_size: 256
    .name:           _ZN9rocsparseL18csric0_hash_kernelILj256ELj32ELj8EfEEviPKiS2_PT2_S2_PiS2_S5_S5_d21rocsparse_index_base_
    .private_segment_fixed_size: 0
    .sgpr_count:     50
    .sgpr_spill_count: 0
    .symbol:         _ZN9rocsparseL18csric0_hash_kernelILj256ELj32ELj8EfEEviPKiS2_PT2_S2_PiS2_S5_S5_d21rocsparse_index_base_.kd
    .uniform_work_group_size: 1
    .uses_dynamic_stack: false
    .vgpr_count:     29
    .vgpr_spill_count: 0
    .wavefront_size: 64
  - .agpr_count:     0
    .args:
      - .offset:         0
        .size:           4
        .value_kind:     by_value
      - .actual_access:  read_only
        .address_space:  global
        .offset:         8
        .size:           8
        .value_kind:     global_buffer
      - .actual_access:  read_only
        .address_space:  global
        .offset:         16
        .size:           8
        .value_kind:     global_buffer
      - .address_space:  global
        .offset:         24
        .size:           8
        .value_kind:     global_buffer
      - .actual_access:  read_only
        .address_space:  global
        .offset:         32
        .size:           8
        .value_kind:     global_buffer
      - .address_space:  global
        .offset:         40
        .size:           8
        .value_kind:     global_buffer
      - .actual_access:  read_only
        .address_space:  global
        .offset:         48
        .size:           8
        .value_kind:     global_buffer
      - .address_space:  global
        .offset:         56
        .size:           8
        .value_kind:     global_buffer
      - .address_space:  global
        .offset:         64
        .size:           8
        .value_kind:     global_buffer
      - .offset:         72
        .size:           8
        .value_kind:     by_value
      - .offset:         80
        .size:           4
        .value_kind:     by_value
    .group_segment_fixed_size: 32768
    .kernarg_segment_align: 8
    .kernarg_segment_size: 84
    .language:       OpenCL C
    .language_version:
      - 2
      - 0
    .max_flat_workgroup_size: 256
    .name:           _ZN9rocsparseL18csric0_hash_kernelILj256ELj32ELj16EfEEviPKiS2_PT2_S2_PiS2_S5_S5_d21rocsparse_index_base_
    .private_segment_fixed_size: 0
    .sgpr_count:     50
    .sgpr_spill_count: 0
    .symbol:         _ZN9rocsparseL18csric0_hash_kernelILj256ELj32ELj16EfEEviPKiS2_PT2_S2_PiS2_S5_S5_d21rocsparse_index_base_.kd
    .uniform_work_group_size: 1
    .uses_dynamic_stack: false
    .vgpr_count:     29
    .vgpr_spill_count: 0
    .wavefront_size: 64
  - .agpr_count:     0
    .args:
      - .offset:         0
        .size:           4
        .value_kind:     by_value
      - .actual_access:  read_only
        .address_space:  global
        .offset:         8
        .size:           8
        .value_kind:     global_buffer
      - .actual_access:  read_only
        .address_space:  global
        .offset:         16
        .size:           8
        .value_kind:     global_buffer
      - .address_space:  global
        .offset:         24
        .size:           8
        .value_kind:     global_buffer
      - .actual_access:  read_only
        .address_space:  global
        .offset:         32
        .size:           8
        .value_kind:     global_buffer
      - .address_space:  global
        .offset:         40
        .size:           8
        .value_kind:     global_buffer
      - .actual_access:  read_only
        .address_space:  global
        .offset:         48
        .size:           8
        .value_kind:     global_buffer
      - .address_space:  global
        .offset:         56
        .size:           8
        .value_kind:     global_buffer
      - .address_space:  global
        .offset:         64
        .size:           8
        .value_kind:     global_buffer
      - .offset:         72
        .size:           8
        .value_kind:     by_value
      - .offset:         80
        .size:           4
        .value_kind:     by_value
    .group_segment_fixed_size: 0
    .kernarg_segment_align: 8
    .kernarg_segment_size: 84
    .language:       OpenCL C
    .language_version:
      - 2
      - 0
    .max_flat_workgroup_size: 256
    .name:           _ZN9rocsparseL23csric0_binsearch_kernelILj256ELj32ELb0EfEEviPKiS2_PT2_S2_PiS2_S5_S5_d21rocsparse_index_base_
    .private_segment_fixed_size: 0
    .sgpr_count:     42
    .sgpr_spill_count: 0
    .symbol:         _ZN9rocsparseL23csric0_binsearch_kernelILj256ELj32ELb0EfEEviPKiS2_PT2_S2_PiS2_S5_S5_d21rocsparse_index_base_.kd
    .uniform_work_group_size: 1
    .uses_dynamic_stack: false
    .vgpr_count:     36
    .vgpr_spill_count: 0
    .wavefront_size: 64
  - .agpr_count:     0
    .args:
      - .offset:         0
        .size:           4
        .value_kind:     by_value
      - .actual_access:  read_only
        .address_space:  global
        .offset:         8
        .size:           8
        .value_kind:     global_buffer
      - .actual_access:  read_only
        .address_space:  global
        .offset:         16
        .size:           8
        .value_kind:     global_buffer
      - .address_space:  global
        .offset:         24
        .size:           8
        .value_kind:     global_buffer
      - .actual_access:  read_only
        .address_space:  global
        .offset:         32
        .size:           8
        .value_kind:     global_buffer
      - .address_space:  global
        .offset:         40
        .size:           8
        .value_kind:     global_buffer
      - .actual_access:  read_only
        .address_space:  global
        .offset:         48
        .size:           8
        .value_kind:     global_buffer
      - .address_space:  global
        .offset:         56
        .size:           8
        .value_kind:     global_buffer
      - .address_space:  global
        .offset:         64
        .size:           8
        .value_kind:     global_buffer
      - .offset:         72
        .size:           8
        .value_kind:     by_value
      - .offset:         80
        .size:           4
        .value_kind:     by_value
    .group_segment_fixed_size: 2048
    .kernarg_segment_align: 8
    .kernarg_segment_size: 84
    .language:       OpenCL C
    .language_version:
      - 2
      - 0
    .max_flat_workgroup_size: 256
    .name:           _ZN9rocsparseL18csric0_hash_kernelILj256ELj64ELj1EfEEviPKiS2_PT2_S2_PiS2_S5_S5_d21rocsparse_index_base_
    .private_segment_fixed_size: 0
    .sgpr_count:     50
    .sgpr_spill_count: 0
    .symbol:         _ZN9rocsparseL18csric0_hash_kernelILj256ELj64ELj1EfEEviPKiS2_PT2_S2_PiS2_S5_S5_d21rocsparse_index_base_.kd
    .uniform_work_group_size: 1
    .uses_dynamic_stack: false
    .vgpr_count:     29
    .vgpr_spill_count: 0
    .wavefront_size: 64
  - .agpr_count:     0
    .args:
      - .offset:         0
        .size:           4
        .value_kind:     by_value
      - .actual_access:  read_only
        .address_space:  global
        .offset:         8
        .size:           8
        .value_kind:     global_buffer
      - .actual_access:  read_only
        .address_space:  global
        .offset:         16
        .size:           8
        .value_kind:     global_buffer
      - .address_space:  global
        .offset:         24
        .size:           8
        .value_kind:     global_buffer
      - .actual_access:  read_only
        .address_space:  global
        .offset:         32
        .size:           8
        .value_kind:     global_buffer
      - .address_space:  global
        .offset:         40
        .size:           8
        .value_kind:     global_buffer
      - .actual_access:  read_only
        .address_space:  global
        .offset:         48
        .size:           8
        .value_kind:     global_buffer
      - .address_space:  global
        .offset:         56
        .size:           8
        .value_kind:     global_buffer
      - .address_space:  global
        .offset:         64
        .size:           8
        .value_kind:     global_buffer
      - .offset:         72
        .size:           8
        .value_kind:     by_value
      - .offset:         80
        .size:           4
        .value_kind:     by_value
    .group_segment_fixed_size: 4096
    .kernarg_segment_align: 8
    .kernarg_segment_size: 84
    .language:       OpenCL C
    .language_version:
      - 2
      - 0
    .max_flat_workgroup_size: 256
    .name:           _ZN9rocsparseL18csric0_hash_kernelILj256ELj64ELj2EfEEviPKiS2_PT2_S2_PiS2_S5_S5_d21rocsparse_index_base_
    .private_segment_fixed_size: 0
    .sgpr_count:     50
    .sgpr_spill_count: 0
    .symbol:         _ZN9rocsparseL18csric0_hash_kernelILj256ELj64ELj2EfEEviPKiS2_PT2_S2_PiS2_S5_S5_d21rocsparse_index_base_.kd
    .uniform_work_group_size: 1
    .uses_dynamic_stack: false
    .vgpr_count:     29
    .vgpr_spill_count: 0
    .wavefront_size: 64
  - .agpr_count:     0
    .args:
      - .offset:         0
        .size:           4
        .value_kind:     by_value
      - .actual_access:  read_only
        .address_space:  global
        .offset:         8
        .size:           8
        .value_kind:     global_buffer
      - .actual_access:  read_only
        .address_space:  global
        .offset:         16
        .size:           8
        .value_kind:     global_buffer
      - .address_space:  global
        .offset:         24
        .size:           8
        .value_kind:     global_buffer
      - .actual_access:  read_only
        .address_space:  global
        .offset:         32
        .size:           8
        .value_kind:     global_buffer
      - .address_space:  global
        .offset:         40
        .size:           8
        .value_kind:     global_buffer
      - .actual_access:  read_only
        .address_space:  global
        .offset:         48
        .size:           8
        .value_kind:     global_buffer
      - .address_space:  global
        .offset:         56
        .size:           8
        .value_kind:     global_buffer
      - .address_space:  global
        .offset:         64
        .size:           8
        .value_kind:     global_buffer
      - .offset:         72
        .size:           8
        .value_kind:     by_value
      - .offset:         80
        .size:           4
        .value_kind:     by_value
    .group_segment_fixed_size: 8192
    .kernarg_segment_align: 8
    .kernarg_segment_size: 84
    .language:       OpenCL C
    .language_version:
      - 2
      - 0
    .max_flat_workgroup_size: 256
    .name:           _ZN9rocsparseL18csric0_hash_kernelILj256ELj64ELj4EfEEviPKiS2_PT2_S2_PiS2_S5_S5_d21rocsparse_index_base_
    .private_segment_fixed_size: 0
    .sgpr_count:     50
    .sgpr_spill_count: 0
    .symbol:         _ZN9rocsparseL18csric0_hash_kernelILj256ELj64ELj4EfEEviPKiS2_PT2_S2_PiS2_S5_S5_d21rocsparse_index_base_.kd
    .uniform_work_group_size: 1
    .uses_dynamic_stack: false
    .vgpr_count:     29
    .vgpr_spill_count: 0
    .wavefront_size: 64
  - .agpr_count:     0
    .args:
      - .offset:         0
        .size:           4
        .value_kind:     by_value
      - .actual_access:  read_only
        .address_space:  global
        .offset:         8
        .size:           8
        .value_kind:     global_buffer
      - .actual_access:  read_only
        .address_space:  global
        .offset:         16
        .size:           8
        .value_kind:     global_buffer
      - .address_space:  global
        .offset:         24
        .size:           8
        .value_kind:     global_buffer
      - .actual_access:  read_only
        .address_space:  global
        .offset:         32
        .size:           8
        .value_kind:     global_buffer
      - .address_space:  global
        .offset:         40
        .size:           8
        .value_kind:     global_buffer
      - .actual_access:  read_only
        .address_space:  global
        .offset:         48
        .size:           8
        .value_kind:     global_buffer
      - .address_space:  global
        .offset:         56
        .size:           8
        .value_kind:     global_buffer
      - .address_space:  global
        .offset:         64
        .size:           8
        .value_kind:     global_buffer
      - .offset:         72
        .size:           8
        .value_kind:     by_value
      - .offset:         80
        .size:           4
        .value_kind:     by_value
    .group_segment_fixed_size: 16384
    .kernarg_segment_align: 8
    .kernarg_segment_size: 84
    .language:       OpenCL C
    .language_version:
      - 2
      - 0
    .max_flat_workgroup_size: 256
    .name:           _ZN9rocsparseL18csric0_hash_kernelILj256ELj64ELj8EfEEviPKiS2_PT2_S2_PiS2_S5_S5_d21rocsparse_index_base_
    .private_segment_fixed_size: 0
    .sgpr_count:     50
    .sgpr_spill_count: 0
    .symbol:         _ZN9rocsparseL18csric0_hash_kernelILj256ELj64ELj8EfEEviPKiS2_PT2_S2_PiS2_S5_S5_d21rocsparse_index_base_.kd
    .uniform_work_group_size: 1
    .uses_dynamic_stack: false
    .vgpr_count:     29
    .vgpr_spill_count: 0
    .wavefront_size: 64
  - .agpr_count:     0
    .args:
      - .offset:         0
        .size:           4
        .value_kind:     by_value
      - .actual_access:  read_only
        .address_space:  global
        .offset:         8
        .size:           8
        .value_kind:     global_buffer
      - .actual_access:  read_only
        .address_space:  global
        .offset:         16
        .size:           8
        .value_kind:     global_buffer
      - .address_space:  global
        .offset:         24
        .size:           8
        .value_kind:     global_buffer
      - .actual_access:  read_only
        .address_space:  global
        .offset:         32
        .size:           8
        .value_kind:     global_buffer
      - .address_space:  global
        .offset:         40
        .size:           8
        .value_kind:     global_buffer
      - .actual_access:  read_only
        .address_space:  global
        .offset:         48
        .size:           8
        .value_kind:     global_buffer
      - .address_space:  global
        .offset:         56
        .size:           8
        .value_kind:     global_buffer
      - .address_space:  global
        .offset:         64
        .size:           8
        .value_kind:     global_buffer
      - .offset:         72
        .size:           8
        .value_kind:     by_value
      - .offset:         80
        .size:           4
        .value_kind:     by_value
    .group_segment_fixed_size: 32768
    .kernarg_segment_align: 8
    .kernarg_segment_size: 84
    .language:       OpenCL C
    .language_version:
      - 2
      - 0
    .max_flat_workgroup_size: 256
    .name:           _ZN9rocsparseL18csric0_hash_kernelILj256ELj64ELj16EfEEviPKiS2_PT2_S2_PiS2_S5_S5_d21rocsparse_index_base_
    .private_segment_fixed_size: 0
    .sgpr_count:     50
    .sgpr_spill_count: 0
    .symbol:         _ZN9rocsparseL18csric0_hash_kernelILj256ELj64ELj16EfEEviPKiS2_PT2_S2_PiS2_S5_S5_d21rocsparse_index_base_.kd
    .uniform_work_group_size: 1
    .uses_dynamic_stack: false
    .vgpr_count:     29
    .vgpr_spill_count: 0
    .wavefront_size: 64
  - .agpr_count:     0
    .args:
      - .offset:         0
        .size:           4
        .value_kind:     by_value
      - .actual_access:  read_only
        .address_space:  global
        .offset:         8
        .size:           8
        .value_kind:     global_buffer
      - .actual_access:  read_only
        .address_space:  global
        .offset:         16
        .size:           8
        .value_kind:     global_buffer
      - .address_space:  global
        .offset:         24
        .size:           8
        .value_kind:     global_buffer
      - .actual_access:  read_only
        .address_space:  global
        .offset:         32
        .size:           8
        .value_kind:     global_buffer
      - .address_space:  global
        .offset:         40
        .size:           8
        .value_kind:     global_buffer
      - .actual_access:  read_only
        .address_space:  global
        .offset:         48
        .size:           8
        .value_kind:     global_buffer
      - .address_space:  global
        .offset:         56
        .size:           8
        .value_kind:     global_buffer
      - .address_space:  global
        .offset:         64
        .size:           8
        .value_kind:     global_buffer
      - .offset:         72
        .size:           8
        .value_kind:     by_value
      - .offset:         80
        .size:           4
        .value_kind:     by_value
    .group_segment_fixed_size: 0
    .kernarg_segment_align: 8
    .kernarg_segment_size: 84
    .language:       OpenCL C
    .language_version:
      - 2
      - 0
    .max_flat_workgroup_size: 256
    .name:           _ZN9rocsparseL23csric0_binsearch_kernelILj256ELj64ELb0EfEEviPKiS2_PT2_S2_PiS2_S5_S5_d21rocsparse_index_base_
    .private_segment_fixed_size: 0
    .sgpr_count:     42
    .sgpr_spill_count: 0
    .symbol:         _ZN9rocsparseL23csric0_binsearch_kernelILj256ELj64ELb0EfEEviPKiS2_PT2_S2_PiS2_S5_S5_d21rocsparse_index_base_.kd
    .uniform_work_group_size: 1
    .uses_dynamic_stack: false
    .vgpr_count:     36
    .vgpr_spill_count: 0
    .wavefront_size: 64
  - .agpr_count:     0
    .args:
      - .offset:         0
        .size:           4
        .value_kind:     by_value
      - .actual_access:  read_only
        .address_space:  global
        .offset:         8
        .size:           8
        .value_kind:     global_buffer
      - .actual_access:  read_only
        .address_space:  global
        .offset:         16
        .size:           8
        .value_kind:     global_buffer
      - .address_space:  global
        .offset:         24
        .size:           8
        .value_kind:     global_buffer
      - .actual_access:  read_only
        .address_space:  global
        .offset:         32
        .size:           8
        .value_kind:     global_buffer
      - .address_space:  global
        .offset:         40
        .size:           8
        .value_kind:     global_buffer
      - .actual_access:  read_only
        .address_space:  global
        .offset:         48
        .size:           8
        .value_kind:     global_buffer
      - .address_space:  global
        .offset:         56
        .size:           8
        .value_kind:     global_buffer
      - .address_space:  global
        .offset:         64
        .size:           8
        .value_kind:     global_buffer
      - .offset:         72
        .size:           8
        .value_kind:     by_value
      - .offset:         80
        .size:           4
        .value_kind:     by_value
    .group_segment_fixed_size: 0
    .kernarg_segment_align: 8
    .kernarg_segment_size: 84
    .language:       OpenCL C
    .language_version:
      - 2
      - 0
    .max_flat_workgroup_size: 256
    .name:           _ZN9rocsparseL23csric0_binsearch_kernelILj256ELj64ELb1EdEEviPKiS2_PT2_S2_PiS2_S5_S5_d21rocsparse_index_base_
    .private_segment_fixed_size: 0
    .sgpr_count:     42
    .sgpr_spill_count: 0
    .symbol:         _ZN9rocsparseL23csric0_binsearch_kernelILj256ELj64ELb1EdEEviPKiS2_PT2_S2_PiS2_S5_S5_d21rocsparse_index_base_.kd
    .uniform_work_group_size: 1
    .uses_dynamic_stack: false
    .vgpr_count:     40
    .vgpr_spill_count: 0
    .wavefront_size: 64
  - .agpr_count:     0
    .args:
      - .offset:         0
        .size:           4
        .value_kind:     by_value
      - .actual_access:  read_only
        .address_space:  global
        .offset:         8
        .size:           8
        .value_kind:     global_buffer
      - .actual_access:  read_only
        .address_space:  global
        .offset:         16
        .size:           8
        .value_kind:     global_buffer
      - .address_space:  global
        .offset:         24
        .size:           8
        .value_kind:     global_buffer
      - .actual_access:  read_only
        .address_space:  global
        .offset:         32
        .size:           8
        .value_kind:     global_buffer
      - .address_space:  global
        .offset:         40
        .size:           8
        .value_kind:     global_buffer
      - .actual_access:  read_only
        .address_space:  global
        .offset:         48
        .size:           8
        .value_kind:     global_buffer
      - .address_space:  global
        .offset:         56
        .size:           8
        .value_kind:     global_buffer
      - .address_space:  global
        .offset:         64
        .size:           8
        .value_kind:     global_buffer
      - .offset:         72
        .size:           8
        .value_kind:     by_value
      - .offset:         80
        .size:           4
        .value_kind:     by_value
    .group_segment_fixed_size: 2048
    .kernarg_segment_align: 8
    .kernarg_segment_size: 84
    .language:       OpenCL C
    .language_version:
      - 2
      - 0
    .max_flat_workgroup_size: 256
    .name:           _ZN9rocsparseL18csric0_hash_kernelILj256ELj32ELj1EdEEviPKiS2_PT2_S2_PiS2_S5_S5_d21rocsparse_index_base_
    .private_segment_fixed_size: 0
    .sgpr_count:     50
    .sgpr_spill_count: 0
    .symbol:         _ZN9rocsparseL18csric0_hash_kernelILj256ELj32ELj1EdEEviPKiS2_PT2_S2_PiS2_S5_S5_d21rocsparse_index_base_.kd
    .uniform_work_group_size: 1
    .uses_dynamic_stack: false
    .vgpr_count:     38
    .vgpr_spill_count: 0
    .wavefront_size: 64
  - .agpr_count:     0
    .args:
      - .offset:         0
        .size:           4
        .value_kind:     by_value
      - .actual_access:  read_only
        .address_space:  global
        .offset:         8
        .size:           8
        .value_kind:     global_buffer
      - .actual_access:  read_only
        .address_space:  global
        .offset:         16
        .size:           8
        .value_kind:     global_buffer
      - .address_space:  global
        .offset:         24
        .size:           8
        .value_kind:     global_buffer
      - .actual_access:  read_only
        .address_space:  global
        .offset:         32
        .size:           8
        .value_kind:     global_buffer
      - .address_space:  global
        .offset:         40
        .size:           8
        .value_kind:     global_buffer
      - .actual_access:  read_only
        .address_space:  global
        .offset:         48
        .size:           8
        .value_kind:     global_buffer
      - .address_space:  global
        .offset:         56
        .size:           8
        .value_kind:     global_buffer
      - .address_space:  global
        .offset:         64
        .size:           8
        .value_kind:     global_buffer
      - .offset:         72
        .size:           8
        .value_kind:     by_value
      - .offset:         80
        .size:           4
        .value_kind:     by_value
    .group_segment_fixed_size: 4096
    .kernarg_segment_align: 8
    .kernarg_segment_size: 84
    .language:       OpenCL C
    .language_version:
      - 2
      - 0
    .max_flat_workgroup_size: 256
    .name:           _ZN9rocsparseL18csric0_hash_kernelILj256ELj32ELj2EdEEviPKiS2_PT2_S2_PiS2_S5_S5_d21rocsparse_index_base_
    .private_segment_fixed_size: 0
    .sgpr_count:     50
    .sgpr_spill_count: 0
    .symbol:         _ZN9rocsparseL18csric0_hash_kernelILj256ELj32ELj2EdEEviPKiS2_PT2_S2_PiS2_S5_S5_d21rocsparse_index_base_.kd
    .uniform_work_group_size: 1
    .uses_dynamic_stack: false
    .vgpr_count:     38
    .vgpr_spill_count: 0
    .wavefront_size: 64
  - .agpr_count:     0
    .args:
      - .offset:         0
        .size:           4
        .value_kind:     by_value
      - .actual_access:  read_only
        .address_space:  global
        .offset:         8
        .size:           8
        .value_kind:     global_buffer
      - .actual_access:  read_only
        .address_space:  global
        .offset:         16
        .size:           8
        .value_kind:     global_buffer
      - .address_space:  global
        .offset:         24
        .size:           8
        .value_kind:     global_buffer
      - .actual_access:  read_only
        .address_space:  global
        .offset:         32
        .size:           8
        .value_kind:     global_buffer
      - .address_space:  global
        .offset:         40
        .size:           8
        .value_kind:     global_buffer
      - .actual_access:  read_only
        .address_space:  global
        .offset:         48
        .size:           8
        .value_kind:     global_buffer
      - .address_space:  global
        .offset:         56
        .size:           8
        .value_kind:     global_buffer
      - .address_space:  global
        .offset:         64
        .size:           8
        .value_kind:     global_buffer
      - .offset:         72
        .size:           8
        .value_kind:     by_value
      - .offset:         80
        .size:           4
        .value_kind:     by_value
    .group_segment_fixed_size: 8192
    .kernarg_segment_align: 8
    .kernarg_segment_size: 84
    .language:       OpenCL C
    .language_version:
      - 2
      - 0
    .max_flat_workgroup_size: 256
    .name:           _ZN9rocsparseL18csric0_hash_kernelILj256ELj32ELj4EdEEviPKiS2_PT2_S2_PiS2_S5_S5_d21rocsparse_index_base_
    .private_segment_fixed_size: 0
    .sgpr_count:     50
    .sgpr_spill_count: 0
    .symbol:         _ZN9rocsparseL18csric0_hash_kernelILj256ELj32ELj4EdEEviPKiS2_PT2_S2_PiS2_S5_S5_d21rocsparse_index_base_.kd
    .uniform_work_group_size: 1
    .uses_dynamic_stack: false
    .vgpr_count:     38
    .vgpr_spill_count: 0
    .wavefront_size: 64
  - .agpr_count:     0
    .args:
      - .offset:         0
        .size:           4
        .value_kind:     by_value
      - .actual_access:  read_only
        .address_space:  global
        .offset:         8
        .size:           8
        .value_kind:     global_buffer
      - .actual_access:  read_only
        .address_space:  global
        .offset:         16
        .size:           8
        .value_kind:     global_buffer
      - .address_space:  global
        .offset:         24
        .size:           8
        .value_kind:     global_buffer
      - .actual_access:  read_only
        .address_space:  global
        .offset:         32
        .size:           8
        .value_kind:     global_buffer
      - .address_space:  global
        .offset:         40
        .size:           8
        .value_kind:     global_buffer
      - .actual_access:  read_only
        .address_space:  global
        .offset:         48
        .size:           8
        .value_kind:     global_buffer
      - .address_space:  global
        .offset:         56
        .size:           8
        .value_kind:     global_buffer
      - .address_space:  global
        .offset:         64
        .size:           8
        .value_kind:     global_buffer
      - .offset:         72
        .size:           8
        .value_kind:     by_value
      - .offset:         80
        .size:           4
        .value_kind:     by_value
    .group_segment_fixed_size: 16384
    .kernarg_segment_align: 8
    .kernarg_segment_size: 84
    .language:       OpenCL C
    .language_version:
      - 2
      - 0
    .max_flat_workgroup_size: 256
    .name:           _ZN9rocsparseL18csric0_hash_kernelILj256ELj32ELj8EdEEviPKiS2_PT2_S2_PiS2_S5_S5_d21rocsparse_index_base_
    .private_segment_fixed_size: 0
    .sgpr_count:     50
    .sgpr_spill_count: 0
    .symbol:         _ZN9rocsparseL18csric0_hash_kernelILj256ELj32ELj8EdEEviPKiS2_PT2_S2_PiS2_S5_S5_d21rocsparse_index_base_.kd
    .uniform_work_group_size: 1
    .uses_dynamic_stack: false
    .vgpr_count:     38
    .vgpr_spill_count: 0
    .wavefront_size: 64
  - .agpr_count:     0
    .args:
      - .offset:         0
        .size:           4
        .value_kind:     by_value
      - .actual_access:  read_only
        .address_space:  global
        .offset:         8
        .size:           8
        .value_kind:     global_buffer
      - .actual_access:  read_only
        .address_space:  global
        .offset:         16
        .size:           8
        .value_kind:     global_buffer
      - .address_space:  global
        .offset:         24
        .size:           8
        .value_kind:     global_buffer
      - .actual_access:  read_only
        .address_space:  global
        .offset:         32
        .size:           8
        .value_kind:     global_buffer
      - .address_space:  global
        .offset:         40
        .size:           8
        .value_kind:     global_buffer
      - .actual_access:  read_only
        .address_space:  global
        .offset:         48
        .size:           8
        .value_kind:     global_buffer
      - .address_space:  global
        .offset:         56
        .size:           8
        .value_kind:     global_buffer
      - .address_space:  global
        .offset:         64
        .size:           8
        .value_kind:     global_buffer
      - .offset:         72
        .size:           8
        .value_kind:     by_value
      - .offset:         80
        .size:           4
        .value_kind:     by_value
    .group_segment_fixed_size: 32768
    .kernarg_segment_align: 8
    .kernarg_segment_size: 84
    .language:       OpenCL C
    .language_version:
      - 2
      - 0
    .max_flat_workgroup_size: 256
    .name:           _ZN9rocsparseL18csric0_hash_kernelILj256ELj32ELj16EdEEviPKiS2_PT2_S2_PiS2_S5_S5_d21rocsparse_index_base_
    .private_segment_fixed_size: 0
    .sgpr_count:     50
    .sgpr_spill_count: 0
    .symbol:         _ZN9rocsparseL18csric0_hash_kernelILj256ELj32ELj16EdEEviPKiS2_PT2_S2_PiS2_S5_S5_d21rocsparse_index_base_.kd
    .uniform_work_group_size: 1
    .uses_dynamic_stack: false
    .vgpr_count:     38
    .vgpr_spill_count: 0
    .wavefront_size: 64
  - .agpr_count:     0
    .args:
      - .offset:         0
        .size:           4
        .value_kind:     by_value
      - .actual_access:  read_only
        .address_space:  global
        .offset:         8
        .size:           8
        .value_kind:     global_buffer
      - .actual_access:  read_only
        .address_space:  global
        .offset:         16
        .size:           8
        .value_kind:     global_buffer
      - .address_space:  global
        .offset:         24
        .size:           8
        .value_kind:     global_buffer
      - .actual_access:  read_only
        .address_space:  global
        .offset:         32
        .size:           8
        .value_kind:     global_buffer
      - .address_space:  global
        .offset:         40
        .size:           8
        .value_kind:     global_buffer
      - .actual_access:  read_only
        .address_space:  global
        .offset:         48
        .size:           8
        .value_kind:     global_buffer
      - .address_space:  global
        .offset:         56
        .size:           8
        .value_kind:     global_buffer
      - .address_space:  global
        .offset:         64
        .size:           8
        .value_kind:     global_buffer
      - .offset:         72
        .size:           8
        .value_kind:     by_value
      - .offset:         80
        .size:           4
        .value_kind:     by_value
    .group_segment_fixed_size: 0
    .kernarg_segment_align: 8
    .kernarg_segment_size: 84
    .language:       OpenCL C
    .language_version:
      - 2
      - 0
    .max_flat_workgroup_size: 256
    .name:           _ZN9rocsparseL23csric0_binsearch_kernelILj256ELj32ELb0EdEEviPKiS2_PT2_S2_PiS2_S5_S5_d21rocsparse_index_base_
    .private_segment_fixed_size: 0
    .sgpr_count:     42
    .sgpr_spill_count: 0
    .symbol:         _ZN9rocsparseL23csric0_binsearch_kernelILj256ELj32ELb0EdEEviPKiS2_PT2_S2_PiS2_S5_S5_d21rocsparse_index_base_.kd
    .uniform_work_group_size: 1
    .uses_dynamic_stack: false
    .vgpr_count:     40
    .vgpr_spill_count: 0
    .wavefront_size: 64
  - .agpr_count:     0
    .args:
      - .offset:         0
        .size:           4
        .value_kind:     by_value
      - .actual_access:  read_only
        .address_space:  global
        .offset:         8
        .size:           8
        .value_kind:     global_buffer
      - .actual_access:  read_only
        .address_space:  global
        .offset:         16
        .size:           8
        .value_kind:     global_buffer
      - .address_space:  global
        .offset:         24
        .size:           8
        .value_kind:     global_buffer
      - .actual_access:  read_only
        .address_space:  global
        .offset:         32
        .size:           8
        .value_kind:     global_buffer
      - .address_space:  global
        .offset:         40
        .size:           8
        .value_kind:     global_buffer
      - .actual_access:  read_only
        .address_space:  global
        .offset:         48
        .size:           8
        .value_kind:     global_buffer
      - .address_space:  global
        .offset:         56
        .size:           8
        .value_kind:     global_buffer
      - .address_space:  global
        .offset:         64
        .size:           8
        .value_kind:     global_buffer
      - .offset:         72
        .size:           8
        .value_kind:     by_value
      - .offset:         80
        .size:           4
        .value_kind:     by_value
    .group_segment_fixed_size: 2048
    .kernarg_segment_align: 8
    .kernarg_segment_size: 84
    .language:       OpenCL C
    .language_version:
      - 2
      - 0
    .max_flat_workgroup_size: 256
    .name:           _ZN9rocsparseL18csric0_hash_kernelILj256ELj64ELj1EdEEviPKiS2_PT2_S2_PiS2_S5_S5_d21rocsparse_index_base_
    .private_segment_fixed_size: 0
    .sgpr_count:     50
    .sgpr_spill_count: 0
    .symbol:         _ZN9rocsparseL18csric0_hash_kernelILj256ELj64ELj1EdEEviPKiS2_PT2_S2_PiS2_S5_S5_d21rocsparse_index_base_.kd
    .uniform_work_group_size: 1
    .uses_dynamic_stack: false
    .vgpr_count:     38
    .vgpr_spill_count: 0
    .wavefront_size: 64
  - .agpr_count:     0
    .args:
      - .offset:         0
        .size:           4
        .value_kind:     by_value
      - .actual_access:  read_only
        .address_space:  global
        .offset:         8
        .size:           8
        .value_kind:     global_buffer
      - .actual_access:  read_only
        .address_space:  global
        .offset:         16
        .size:           8
        .value_kind:     global_buffer
      - .address_space:  global
        .offset:         24
        .size:           8
        .value_kind:     global_buffer
      - .actual_access:  read_only
        .address_space:  global
        .offset:         32
        .size:           8
        .value_kind:     global_buffer
      - .address_space:  global
        .offset:         40
        .size:           8
        .value_kind:     global_buffer
      - .actual_access:  read_only
        .address_space:  global
        .offset:         48
        .size:           8
        .value_kind:     global_buffer
      - .address_space:  global
        .offset:         56
        .size:           8
        .value_kind:     global_buffer
      - .address_space:  global
        .offset:         64
        .size:           8
        .value_kind:     global_buffer
      - .offset:         72
        .size:           8
        .value_kind:     by_value
      - .offset:         80
        .size:           4
        .value_kind:     by_value
    .group_segment_fixed_size: 4096
    .kernarg_segment_align: 8
    .kernarg_segment_size: 84
    .language:       OpenCL C
    .language_version:
      - 2
      - 0
    .max_flat_workgroup_size: 256
    .name:           _ZN9rocsparseL18csric0_hash_kernelILj256ELj64ELj2EdEEviPKiS2_PT2_S2_PiS2_S5_S5_d21rocsparse_index_base_
    .private_segment_fixed_size: 0
    .sgpr_count:     50
    .sgpr_spill_count: 0
    .symbol:         _ZN9rocsparseL18csric0_hash_kernelILj256ELj64ELj2EdEEviPKiS2_PT2_S2_PiS2_S5_S5_d21rocsparse_index_base_.kd
    .uniform_work_group_size: 1
    .uses_dynamic_stack: false
    .vgpr_count:     38
    .vgpr_spill_count: 0
    .wavefront_size: 64
  - .agpr_count:     0
    .args:
      - .offset:         0
        .size:           4
        .value_kind:     by_value
      - .actual_access:  read_only
        .address_space:  global
        .offset:         8
        .size:           8
        .value_kind:     global_buffer
      - .actual_access:  read_only
        .address_space:  global
        .offset:         16
        .size:           8
        .value_kind:     global_buffer
      - .address_space:  global
        .offset:         24
        .size:           8
        .value_kind:     global_buffer
      - .actual_access:  read_only
        .address_space:  global
        .offset:         32
        .size:           8
        .value_kind:     global_buffer
      - .address_space:  global
        .offset:         40
        .size:           8
        .value_kind:     global_buffer
      - .actual_access:  read_only
        .address_space:  global
        .offset:         48
        .size:           8
        .value_kind:     global_buffer
      - .address_space:  global
        .offset:         56
        .size:           8
        .value_kind:     global_buffer
      - .address_space:  global
        .offset:         64
        .size:           8
        .value_kind:     global_buffer
      - .offset:         72
        .size:           8
        .value_kind:     by_value
      - .offset:         80
        .size:           4
        .value_kind:     by_value
    .group_segment_fixed_size: 8192
    .kernarg_segment_align: 8
    .kernarg_segment_size: 84
    .language:       OpenCL C
    .language_version:
      - 2
      - 0
    .max_flat_workgroup_size: 256
    .name:           _ZN9rocsparseL18csric0_hash_kernelILj256ELj64ELj4EdEEviPKiS2_PT2_S2_PiS2_S5_S5_d21rocsparse_index_base_
    .private_segment_fixed_size: 0
    .sgpr_count:     50
    .sgpr_spill_count: 0
    .symbol:         _ZN9rocsparseL18csric0_hash_kernelILj256ELj64ELj4EdEEviPKiS2_PT2_S2_PiS2_S5_S5_d21rocsparse_index_base_.kd
    .uniform_work_group_size: 1
    .uses_dynamic_stack: false
    .vgpr_count:     38
    .vgpr_spill_count: 0
    .wavefront_size: 64
  - .agpr_count:     0
    .args:
      - .offset:         0
        .size:           4
        .value_kind:     by_value
      - .actual_access:  read_only
        .address_space:  global
        .offset:         8
        .size:           8
        .value_kind:     global_buffer
      - .actual_access:  read_only
        .address_space:  global
        .offset:         16
        .size:           8
        .value_kind:     global_buffer
      - .address_space:  global
        .offset:         24
        .size:           8
        .value_kind:     global_buffer
      - .actual_access:  read_only
        .address_space:  global
        .offset:         32
        .size:           8
        .value_kind:     global_buffer
      - .address_space:  global
        .offset:         40
        .size:           8
        .value_kind:     global_buffer
      - .actual_access:  read_only
        .address_space:  global
        .offset:         48
        .size:           8
        .value_kind:     global_buffer
      - .address_space:  global
        .offset:         56
        .size:           8
        .value_kind:     global_buffer
      - .address_space:  global
        .offset:         64
        .size:           8
        .value_kind:     global_buffer
      - .offset:         72
        .size:           8
        .value_kind:     by_value
      - .offset:         80
        .size:           4
        .value_kind:     by_value
    .group_segment_fixed_size: 16384
    .kernarg_segment_align: 8
    .kernarg_segment_size: 84
    .language:       OpenCL C
    .language_version:
      - 2
      - 0
    .max_flat_workgroup_size: 256
    .name:           _ZN9rocsparseL18csric0_hash_kernelILj256ELj64ELj8EdEEviPKiS2_PT2_S2_PiS2_S5_S5_d21rocsparse_index_base_
    .private_segment_fixed_size: 0
    .sgpr_count:     50
    .sgpr_spill_count: 0
    .symbol:         _ZN9rocsparseL18csric0_hash_kernelILj256ELj64ELj8EdEEviPKiS2_PT2_S2_PiS2_S5_S5_d21rocsparse_index_base_.kd
    .uniform_work_group_size: 1
    .uses_dynamic_stack: false
    .vgpr_count:     38
    .vgpr_spill_count: 0
    .wavefront_size: 64
  - .agpr_count:     0
    .args:
      - .offset:         0
        .size:           4
        .value_kind:     by_value
      - .actual_access:  read_only
        .address_space:  global
        .offset:         8
        .size:           8
        .value_kind:     global_buffer
      - .actual_access:  read_only
        .address_space:  global
        .offset:         16
        .size:           8
        .value_kind:     global_buffer
      - .address_space:  global
        .offset:         24
        .size:           8
        .value_kind:     global_buffer
      - .actual_access:  read_only
        .address_space:  global
        .offset:         32
        .size:           8
        .value_kind:     global_buffer
      - .address_space:  global
        .offset:         40
        .size:           8
        .value_kind:     global_buffer
      - .actual_access:  read_only
        .address_space:  global
        .offset:         48
        .size:           8
        .value_kind:     global_buffer
      - .address_space:  global
        .offset:         56
        .size:           8
        .value_kind:     global_buffer
      - .address_space:  global
        .offset:         64
        .size:           8
        .value_kind:     global_buffer
      - .offset:         72
        .size:           8
        .value_kind:     by_value
      - .offset:         80
        .size:           4
        .value_kind:     by_value
    .group_segment_fixed_size: 32768
    .kernarg_segment_align: 8
    .kernarg_segment_size: 84
    .language:       OpenCL C
    .language_version:
      - 2
      - 0
    .max_flat_workgroup_size: 256
    .name:           _ZN9rocsparseL18csric0_hash_kernelILj256ELj64ELj16EdEEviPKiS2_PT2_S2_PiS2_S5_S5_d21rocsparse_index_base_
    .private_segment_fixed_size: 0
    .sgpr_count:     50
    .sgpr_spill_count: 0
    .symbol:         _ZN9rocsparseL18csric0_hash_kernelILj256ELj64ELj16EdEEviPKiS2_PT2_S2_PiS2_S5_S5_d21rocsparse_index_base_.kd
    .uniform_work_group_size: 1
    .uses_dynamic_stack: false
    .vgpr_count:     38
    .vgpr_spill_count: 0
    .wavefront_size: 64
  - .agpr_count:     0
    .args:
      - .offset:         0
        .size:           4
        .value_kind:     by_value
      - .actual_access:  read_only
        .address_space:  global
        .offset:         8
        .size:           8
        .value_kind:     global_buffer
      - .actual_access:  read_only
        .address_space:  global
        .offset:         16
        .size:           8
        .value_kind:     global_buffer
      - .address_space:  global
        .offset:         24
        .size:           8
        .value_kind:     global_buffer
      - .actual_access:  read_only
        .address_space:  global
        .offset:         32
        .size:           8
        .value_kind:     global_buffer
      - .address_space:  global
        .offset:         40
        .size:           8
        .value_kind:     global_buffer
      - .actual_access:  read_only
        .address_space:  global
        .offset:         48
        .size:           8
        .value_kind:     global_buffer
      - .address_space:  global
        .offset:         56
        .size:           8
        .value_kind:     global_buffer
      - .address_space:  global
        .offset:         64
        .size:           8
        .value_kind:     global_buffer
      - .offset:         72
        .size:           8
        .value_kind:     by_value
      - .offset:         80
        .size:           4
        .value_kind:     by_value
    .group_segment_fixed_size: 0
    .kernarg_segment_align: 8
    .kernarg_segment_size: 84
    .language:       OpenCL C
    .language_version:
      - 2
      - 0
    .max_flat_workgroup_size: 256
    .name:           _ZN9rocsparseL23csric0_binsearch_kernelILj256ELj64ELb0EdEEviPKiS2_PT2_S2_PiS2_S5_S5_d21rocsparse_index_base_
    .private_segment_fixed_size: 0
    .sgpr_count:     42
    .sgpr_spill_count: 0
    .symbol:         _ZN9rocsparseL23csric0_binsearch_kernelILj256ELj64ELb0EdEEviPKiS2_PT2_S2_PiS2_S5_S5_d21rocsparse_index_base_.kd
    .uniform_work_group_size: 1
    .uses_dynamic_stack: false
    .vgpr_count:     40
    .vgpr_spill_count: 0
    .wavefront_size: 64
  - .agpr_count:     0
    .args:
      - .offset:         0
        .size:           4
        .value_kind:     by_value
      - .actual_access:  read_only
        .address_space:  global
        .offset:         8
        .size:           8
        .value_kind:     global_buffer
      - .actual_access:  read_only
        .address_space:  global
        .offset:         16
        .size:           8
        .value_kind:     global_buffer
      - .address_space:  global
        .offset:         24
        .size:           8
        .value_kind:     global_buffer
      - .actual_access:  read_only
        .address_space:  global
        .offset:         32
        .size:           8
        .value_kind:     global_buffer
      - .address_space:  global
        .offset:         40
        .size:           8
        .value_kind:     global_buffer
      - .actual_access:  read_only
        .address_space:  global
        .offset:         48
        .size:           8
        .value_kind:     global_buffer
      - .address_space:  global
        .offset:         56
        .size:           8
        .value_kind:     global_buffer
      - .address_space:  global
        .offset:         64
        .size:           8
        .value_kind:     global_buffer
      - .offset:         72
        .size:           8
        .value_kind:     by_value
      - .offset:         80
        .size:           4
        .value_kind:     by_value
    .group_segment_fixed_size: 0
    .kernarg_segment_align: 8
    .kernarg_segment_size: 84
    .language:       OpenCL C
    .language_version:
      - 2
      - 0
    .max_flat_workgroup_size: 256
    .name:           _ZN9rocsparseL23csric0_binsearch_kernelILj256ELj64ELb1E21rocsparse_complex_numIfEEEviPKiS4_PT2_S4_PiS4_S7_S7_d21rocsparse_index_base_
    .private_segment_fixed_size: 0
    .sgpr_count:     42
    .sgpr_spill_count: 0
    .symbol:         _ZN9rocsparseL23csric0_binsearch_kernelILj256ELj64ELb1E21rocsparse_complex_numIfEEEviPKiS4_PT2_S4_PiS4_S7_S7_d21rocsparse_index_base_.kd
    .uniform_work_group_size: 1
    .uses_dynamic_stack: false
    .vgpr_count:     40
    .vgpr_spill_count: 0
    .wavefront_size: 64
  - .agpr_count:     0
    .args:
      - .offset:         0
        .size:           4
        .value_kind:     by_value
      - .actual_access:  read_only
        .address_space:  global
        .offset:         8
        .size:           8
        .value_kind:     global_buffer
      - .actual_access:  read_only
        .address_space:  global
        .offset:         16
        .size:           8
        .value_kind:     global_buffer
      - .address_space:  global
        .offset:         24
        .size:           8
        .value_kind:     global_buffer
      - .actual_access:  read_only
        .address_space:  global
        .offset:         32
        .size:           8
        .value_kind:     global_buffer
      - .address_space:  global
        .offset:         40
        .size:           8
        .value_kind:     global_buffer
      - .actual_access:  read_only
        .address_space:  global
        .offset:         48
        .size:           8
        .value_kind:     global_buffer
      - .address_space:  global
        .offset:         56
        .size:           8
        .value_kind:     global_buffer
      - .address_space:  global
        .offset:         64
        .size:           8
        .value_kind:     global_buffer
      - .offset:         72
        .size:           8
        .value_kind:     by_value
      - .offset:         80
        .size:           4
        .value_kind:     by_value
    .group_segment_fixed_size: 2048
    .kernarg_segment_align: 8
    .kernarg_segment_size: 84
    .language:       OpenCL C
    .language_version:
      - 2
      - 0
    .max_flat_workgroup_size: 256
    .name:           _ZN9rocsparseL18csric0_hash_kernelILj256ELj32ELj1E21rocsparse_complex_numIfEEEviPKiS4_PT2_S4_PiS4_S7_S7_d21rocsparse_index_base_
    .private_segment_fixed_size: 0
    .sgpr_count:     48
    .sgpr_spill_count: 0
    .symbol:         _ZN9rocsparseL18csric0_hash_kernelILj256ELj32ELj1E21rocsparse_complex_numIfEEEviPKiS4_PT2_S4_PiS4_S7_S7_d21rocsparse_index_base_.kd
    .uniform_work_group_size: 1
    .uses_dynamic_stack: false
    .vgpr_count:     38
    .vgpr_spill_count: 0
    .wavefront_size: 64
  - .agpr_count:     0
    .args:
      - .offset:         0
        .size:           4
        .value_kind:     by_value
      - .actual_access:  read_only
        .address_space:  global
        .offset:         8
        .size:           8
        .value_kind:     global_buffer
      - .actual_access:  read_only
        .address_space:  global
        .offset:         16
        .size:           8
        .value_kind:     global_buffer
      - .address_space:  global
        .offset:         24
        .size:           8
        .value_kind:     global_buffer
      - .actual_access:  read_only
        .address_space:  global
        .offset:         32
        .size:           8
        .value_kind:     global_buffer
      - .address_space:  global
        .offset:         40
        .size:           8
        .value_kind:     global_buffer
      - .actual_access:  read_only
        .address_space:  global
        .offset:         48
        .size:           8
        .value_kind:     global_buffer
      - .address_space:  global
        .offset:         56
        .size:           8
        .value_kind:     global_buffer
      - .address_space:  global
        .offset:         64
        .size:           8
        .value_kind:     global_buffer
      - .offset:         72
        .size:           8
        .value_kind:     by_value
      - .offset:         80
        .size:           4
        .value_kind:     by_value
    .group_segment_fixed_size: 4096
    .kernarg_segment_align: 8
    .kernarg_segment_size: 84
    .language:       OpenCL C
    .language_version:
      - 2
      - 0
    .max_flat_workgroup_size: 256
    .name:           _ZN9rocsparseL18csric0_hash_kernelILj256ELj32ELj2E21rocsparse_complex_numIfEEEviPKiS4_PT2_S4_PiS4_S7_S7_d21rocsparse_index_base_
    .private_segment_fixed_size: 0
    .sgpr_count:     48
    .sgpr_spill_count: 0
    .symbol:         _ZN9rocsparseL18csric0_hash_kernelILj256ELj32ELj2E21rocsparse_complex_numIfEEEviPKiS4_PT2_S4_PiS4_S7_S7_d21rocsparse_index_base_.kd
    .uniform_work_group_size: 1
    .uses_dynamic_stack: false
    .vgpr_count:     38
    .vgpr_spill_count: 0
    .wavefront_size: 64
  - .agpr_count:     0
    .args:
      - .offset:         0
        .size:           4
        .value_kind:     by_value
      - .actual_access:  read_only
        .address_space:  global
        .offset:         8
        .size:           8
        .value_kind:     global_buffer
      - .actual_access:  read_only
        .address_space:  global
        .offset:         16
        .size:           8
        .value_kind:     global_buffer
      - .address_space:  global
        .offset:         24
        .size:           8
        .value_kind:     global_buffer
      - .actual_access:  read_only
        .address_space:  global
        .offset:         32
        .size:           8
        .value_kind:     global_buffer
      - .address_space:  global
        .offset:         40
        .size:           8
        .value_kind:     global_buffer
      - .actual_access:  read_only
        .address_space:  global
        .offset:         48
        .size:           8
        .value_kind:     global_buffer
      - .address_space:  global
        .offset:         56
        .size:           8
        .value_kind:     global_buffer
      - .address_space:  global
        .offset:         64
        .size:           8
        .value_kind:     global_buffer
      - .offset:         72
        .size:           8
        .value_kind:     by_value
      - .offset:         80
        .size:           4
        .value_kind:     by_value
    .group_segment_fixed_size: 8192
    .kernarg_segment_align: 8
    .kernarg_segment_size: 84
    .language:       OpenCL C
    .language_version:
      - 2
      - 0
    .max_flat_workgroup_size: 256
    .name:           _ZN9rocsparseL18csric0_hash_kernelILj256ELj32ELj4E21rocsparse_complex_numIfEEEviPKiS4_PT2_S4_PiS4_S7_S7_d21rocsparse_index_base_
    .private_segment_fixed_size: 0
    .sgpr_count:     48
    .sgpr_spill_count: 0
    .symbol:         _ZN9rocsparseL18csric0_hash_kernelILj256ELj32ELj4E21rocsparse_complex_numIfEEEviPKiS4_PT2_S4_PiS4_S7_S7_d21rocsparse_index_base_.kd
    .uniform_work_group_size: 1
    .uses_dynamic_stack: false
    .vgpr_count:     38
    .vgpr_spill_count: 0
    .wavefront_size: 64
  - .agpr_count:     0
    .args:
      - .offset:         0
        .size:           4
        .value_kind:     by_value
      - .actual_access:  read_only
        .address_space:  global
        .offset:         8
        .size:           8
        .value_kind:     global_buffer
      - .actual_access:  read_only
        .address_space:  global
        .offset:         16
        .size:           8
        .value_kind:     global_buffer
      - .address_space:  global
        .offset:         24
        .size:           8
        .value_kind:     global_buffer
      - .actual_access:  read_only
        .address_space:  global
        .offset:         32
        .size:           8
        .value_kind:     global_buffer
      - .address_space:  global
        .offset:         40
        .size:           8
        .value_kind:     global_buffer
      - .actual_access:  read_only
        .address_space:  global
        .offset:         48
        .size:           8
        .value_kind:     global_buffer
      - .address_space:  global
        .offset:         56
        .size:           8
        .value_kind:     global_buffer
      - .address_space:  global
        .offset:         64
        .size:           8
        .value_kind:     global_buffer
      - .offset:         72
        .size:           8
        .value_kind:     by_value
      - .offset:         80
        .size:           4
        .value_kind:     by_value
    .group_segment_fixed_size: 16384
    .kernarg_segment_align: 8
    .kernarg_segment_size: 84
    .language:       OpenCL C
    .language_version:
      - 2
      - 0
    .max_flat_workgroup_size: 256
    .name:           _ZN9rocsparseL18csric0_hash_kernelILj256ELj32ELj8E21rocsparse_complex_numIfEEEviPKiS4_PT2_S4_PiS4_S7_S7_d21rocsparse_index_base_
    .private_segment_fixed_size: 0
    .sgpr_count:     48
    .sgpr_spill_count: 0
    .symbol:         _ZN9rocsparseL18csric0_hash_kernelILj256ELj32ELj8E21rocsparse_complex_numIfEEEviPKiS4_PT2_S4_PiS4_S7_S7_d21rocsparse_index_base_.kd
    .uniform_work_group_size: 1
    .uses_dynamic_stack: false
    .vgpr_count:     38
    .vgpr_spill_count: 0
    .wavefront_size: 64
  - .agpr_count:     0
    .args:
      - .offset:         0
        .size:           4
        .value_kind:     by_value
      - .actual_access:  read_only
        .address_space:  global
        .offset:         8
        .size:           8
        .value_kind:     global_buffer
      - .actual_access:  read_only
        .address_space:  global
        .offset:         16
        .size:           8
        .value_kind:     global_buffer
      - .address_space:  global
        .offset:         24
        .size:           8
        .value_kind:     global_buffer
      - .actual_access:  read_only
        .address_space:  global
        .offset:         32
        .size:           8
        .value_kind:     global_buffer
      - .address_space:  global
        .offset:         40
        .size:           8
        .value_kind:     global_buffer
      - .actual_access:  read_only
        .address_space:  global
        .offset:         48
        .size:           8
        .value_kind:     global_buffer
      - .address_space:  global
        .offset:         56
        .size:           8
        .value_kind:     global_buffer
      - .address_space:  global
        .offset:         64
        .size:           8
        .value_kind:     global_buffer
      - .offset:         72
        .size:           8
        .value_kind:     by_value
      - .offset:         80
        .size:           4
        .value_kind:     by_value
    .group_segment_fixed_size: 32768
    .kernarg_segment_align: 8
    .kernarg_segment_size: 84
    .language:       OpenCL C
    .language_version:
      - 2
      - 0
    .max_flat_workgroup_size: 256
    .name:           _ZN9rocsparseL18csric0_hash_kernelILj256ELj32ELj16E21rocsparse_complex_numIfEEEviPKiS4_PT2_S4_PiS4_S7_S7_d21rocsparse_index_base_
    .private_segment_fixed_size: 0
    .sgpr_count:     48
    .sgpr_spill_count: 0
    .symbol:         _ZN9rocsparseL18csric0_hash_kernelILj256ELj32ELj16E21rocsparse_complex_numIfEEEviPKiS4_PT2_S4_PiS4_S7_S7_d21rocsparse_index_base_.kd
    .uniform_work_group_size: 1
    .uses_dynamic_stack: false
    .vgpr_count:     38
    .vgpr_spill_count: 0
    .wavefront_size: 64
  - .agpr_count:     0
    .args:
      - .offset:         0
        .size:           4
        .value_kind:     by_value
      - .actual_access:  read_only
        .address_space:  global
        .offset:         8
        .size:           8
        .value_kind:     global_buffer
      - .actual_access:  read_only
        .address_space:  global
        .offset:         16
        .size:           8
        .value_kind:     global_buffer
      - .address_space:  global
        .offset:         24
        .size:           8
        .value_kind:     global_buffer
      - .actual_access:  read_only
        .address_space:  global
        .offset:         32
        .size:           8
        .value_kind:     global_buffer
      - .address_space:  global
        .offset:         40
        .size:           8
        .value_kind:     global_buffer
      - .actual_access:  read_only
        .address_space:  global
        .offset:         48
        .size:           8
        .value_kind:     global_buffer
      - .address_space:  global
        .offset:         56
        .size:           8
        .value_kind:     global_buffer
      - .address_space:  global
        .offset:         64
        .size:           8
        .value_kind:     global_buffer
      - .offset:         72
        .size:           8
        .value_kind:     by_value
      - .offset:         80
        .size:           4
        .value_kind:     by_value
    .group_segment_fixed_size: 0
    .kernarg_segment_align: 8
    .kernarg_segment_size: 84
    .language:       OpenCL C
    .language_version:
      - 2
      - 0
    .max_flat_workgroup_size: 256
    .name:           _ZN9rocsparseL23csric0_binsearch_kernelILj256ELj32ELb0E21rocsparse_complex_numIfEEEviPKiS4_PT2_S4_PiS4_S7_S7_d21rocsparse_index_base_
    .private_segment_fixed_size: 0
    .sgpr_count:     42
    .sgpr_spill_count: 0
    .symbol:         _ZN9rocsparseL23csric0_binsearch_kernelILj256ELj32ELb0E21rocsparse_complex_numIfEEEviPKiS4_PT2_S4_PiS4_S7_S7_d21rocsparse_index_base_.kd
    .uniform_work_group_size: 1
    .uses_dynamic_stack: false
    .vgpr_count:     40
    .vgpr_spill_count: 0
    .wavefront_size: 64
  - .agpr_count:     0
    .args:
      - .offset:         0
        .size:           4
        .value_kind:     by_value
      - .actual_access:  read_only
        .address_space:  global
        .offset:         8
        .size:           8
        .value_kind:     global_buffer
      - .actual_access:  read_only
        .address_space:  global
        .offset:         16
        .size:           8
        .value_kind:     global_buffer
      - .address_space:  global
        .offset:         24
        .size:           8
        .value_kind:     global_buffer
      - .actual_access:  read_only
        .address_space:  global
        .offset:         32
        .size:           8
        .value_kind:     global_buffer
      - .address_space:  global
        .offset:         40
        .size:           8
        .value_kind:     global_buffer
      - .actual_access:  read_only
        .address_space:  global
        .offset:         48
        .size:           8
        .value_kind:     global_buffer
      - .address_space:  global
        .offset:         56
        .size:           8
        .value_kind:     global_buffer
      - .address_space:  global
        .offset:         64
        .size:           8
        .value_kind:     global_buffer
      - .offset:         72
        .size:           8
        .value_kind:     by_value
      - .offset:         80
        .size:           4
        .value_kind:     by_value
    .group_segment_fixed_size: 2048
    .kernarg_segment_align: 8
    .kernarg_segment_size: 84
    .language:       OpenCL C
    .language_version:
      - 2
      - 0
    .max_flat_workgroup_size: 256
    .name:           _ZN9rocsparseL18csric0_hash_kernelILj256ELj64ELj1E21rocsparse_complex_numIfEEEviPKiS4_PT2_S4_PiS4_S7_S7_d21rocsparse_index_base_
    .private_segment_fixed_size: 0
    .sgpr_count:     48
    .sgpr_spill_count: 0
    .symbol:         _ZN9rocsparseL18csric0_hash_kernelILj256ELj64ELj1E21rocsparse_complex_numIfEEEviPKiS4_PT2_S4_PiS4_S7_S7_d21rocsparse_index_base_.kd
    .uniform_work_group_size: 1
    .uses_dynamic_stack: false
    .vgpr_count:     38
    .vgpr_spill_count: 0
    .wavefront_size: 64
  - .agpr_count:     0
    .args:
      - .offset:         0
        .size:           4
        .value_kind:     by_value
      - .actual_access:  read_only
        .address_space:  global
        .offset:         8
        .size:           8
        .value_kind:     global_buffer
      - .actual_access:  read_only
        .address_space:  global
        .offset:         16
        .size:           8
        .value_kind:     global_buffer
      - .address_space:  global
        .offset:         24
        .size:           8
        .value_kind:     global_buffer
      - .actual_access:  read_only
        .address_space:  global
        .offset:         32
        .size:           8
        .value_kind:     global_buffer
      - .address_space:  global
        .offset:         40
        .size:           8
        .value_kind:     global_buffer
      - .actual_access:  read_only
        .address_space:  global
        .offset:         48
        .size:           8
        .value_kind:     global_buffer
      - .address_space:  global
        .offset:         56
        .size:           8
        .value_kind:     global_buffer
      - .address_space:  global
        .offset:         64
        .size:           8
        .value_kind:     global_buffer
      - .offset:         72
        .size:           8
        .value_kind:     by_value
      - .offset:         80
        .size:           4
        .value_kind:     by_value
    .group_segment_fixed_size: 4096
    .kernarg_segment_align: 8
    .kernarg_segment_size: 84
    .language:       OpenCL C
    .language_version:
      - 2
      - 0
    .max_flat_workgroup_size: 256
    .name:           _ZN9rocsparseL18csric0_hash_kernelILj256ELj64ELj2E21rocsparse_complex_numIfEEEviPKiS4_PT2_S4_PiS4_S7_S7_d21rocsparse_index_base_
    .private_segment_fixed_size: 0
    .sgpr_count:     48
    .sgpr_spill_count: 0
    .symbol:         _ZN9rocsparseL18csric0_hash_kernelILj256ELj64ELj2E21rocsparse_complex_numIfEEEviPKiS4_PT2_S4_PiS4_S7_S7_d21rocsparse_index_base_.kd
    .uniform_work_group_size: 1
    .uses_dynamic_stack: false
    .vgpr_count:     38
    .vgpr_spill_count: 0
    .wavefront_size: 64
  - .agpr_count:     0
    .args:
      - .offset:         0
        .size:           4
        .value_kind:     by_value
      - .actual_access:  read_only
        .address_space:  global
        .offset:         8
        .size:           8
        .value_kind:     global_buffer
      - .actual_access:  read_only
        .address_space:  global
        .offset:         16
        .size:           8
        .value_kind:     global_buffer
      - .address_space:  global
        .offset:         24
        .size:           8
        .value_kind:     global_buffer
      - .actual_access:  read_only
        .address_space:  global
        .offset:         32
        .size:           8
        .value_kind:     global_buffer
      - .address_space:  global
        .offset:         40
        .size:           8
        .value_kind:     global_buffer
      - .actual_access:  read_only
        .address_space:  global
        .offset:         48
        .size:           8
        .value_kind:     global_buffer
      - .address_space:  global
        .offset:         56
        .size:           8
        .value_kind:     global_buffer
      - .address_space:  global
        .offset:         64
        .size:           8
        .value_kind:     global_buffer
      - .offset:         72
        .size:           8
        .value_kind:     by_value
      - .offset:         80
        .size:           4
        .value_kind:     by_value
    .group_segment_fixed_size: 8192
    .kernarg_segment_align: 8
    .kernarg_segment_size: 84
    .language:       OpenCL C
    .language_version:
      - 2
      - 0
    .max_flat_workgroup_size: 256
    .name:           _ZN9rocsparseL18csric0_hash_kernelILj256ELj64ELj4E21rocsparse_complex_numIfEEEviPKiS4_PT2_S4_PiS4_S7_S7_d21rocsparse_index_base_
    .private_segment_fixed_size: 0
    .sgpr_count:     48
    .sgpr_spill_count: 0
    .symbol:         _ZN9rocsparseL18csric0_hash_kernelILj256ELj64ELj4E21rocsparse_complex_numIfEEEviPKiS4_PT2_S4_PiS4_S7_S7_d21rocsparse_index_base_.kd
    .uniform_work_group_size: 1
    .uses_dynamic_stack: false
    .vgpr_count:     38
    .vgpr_spill_count: 0
    .wavefront_size: 64
  - .agpr_count:     0
    .args:
      - .offset:         0
        .size:           4
        .value_kind:     by_value
      - .actual_access:  read_only
        .address_space:  global
        .offset:         8
        .size:           8
        .value_kind:     global_buffer
      - .actual_access:  read_only
        .address_space:  global
        .offset:         16
        .size:           8
        .value_kind:     global_buffer
      - .address_space:  global
        .offset:         24
        .size:           8
        .value_kind:     global_buffer
      - .actual_access:  read_only
        .address_space:  global
        .offset:         32
        .size:           8
        .value_kind:     global_buffer
      - .address_space:  global
        .offset:         40
        .size:           8
        .value_kind:     global_buffer
      - .actual_access:  read_only
        .address_space:  global
        .offset:         48
        .size:           8
        .value_kind:     global_buffer
      - .address_space:  global
        .offset:         56
        .size:           8
        .value_kind:     global_buffer
      - .address_space:  global
        .offset:         64
        .size:           8
        .value_kind:     global_buffer
      - .offset:         72
        .size:           8
        .value_kind:     by_value
      - .offset:         80
        .size:           4
        .value_kind:     by_value
    .group_segment_fixed_size: 16384
    .kernarg_segment_align: 8
    .kernarg_segment_size: 84
    .language:       OpenCL C
    .language_version:
      - 2
      - 0
    .max_flat_workgroup_size: 256
    .name:           _ZN9rocsparseL18csric0_hash_kernelILj256ELj64ELj8E21rocsparse_complex_numIfEEEviPKiS4_PT2_S4_PiS4_S7_S7_d21rocsparse_index_base_
    .private_segment_fixed_size: 0
    .sgpr_count:     48
    .sgpr_spill_count: 0
    .symbol:         _ZN9rocsparseL18csric0_hash_kernelILj256ELj64ELj8E21rocsparse_complex_numIfEEEviPKiS4_PT2_S4_PiS4_S7_S7_d21rocsparse_index_base_.kd
    .uniform_work_group_size: 1
    .uses_dynamic_stack: false
    .vgpr_count:     38
    .vgpr_spill_count: 0
    .wavefront_size: 64
  - .agpr_count:     0
    .args:
      - .offset:         0
        .size:           4
        .value_kind:     by_value
      - .actual_access:  read_only
        .address_space:  global
        .offset:         8
        .size:           8
        .value_kind:     global_buffer
      - .actual_access:  read_only
        .address_space:  global
        .offset:         16
        .size:           8
        .value_kind:     global_buffer
      - .address_space:  global
        .offset:         24
        .size:           8
        .value_kind:     global_buffer
      - .actual_access:  read_only
        .address_space:  global
        .offset:         32
        .size:           8
        .value_kind:     global_buffer
      - .address_space:  global
        .offset:         40
        .size:           8
        .value_kind:     global_buffer
      - .actual_access:  read_only
        .address_space:  global
        .offset:         48
        .size:           8
        .value_kind:     global_buffer
      - .address_space:  global
        .offset:         56
        .size:           8
        .value_kind:     global_buffer
      - .address_space:  global
        .offset:         64
        .size:           8
        .value_kind:     global_buffer
      - .offset:         72
        .size:           8
        .value_kind:     by_value
      - .offset:         80
        .size:           4
        .value_kind:     by_value
    .group_segment_fixed_size: 32768
    .kernarg_segment_align: 8
    .kernarg_segment_size: 84
    .language:       OpenCL C
    .language_version:
      - 2
      - 0
    .max_flat_workgroup_size: 256
    .name:           _ZN9rocsparseL18csric0_hash_kernelILj256ELj64ELj16E21rocsparse_complex_numIfEEEviPKiS4_PT2_S4_PiS4_S7_S7_d21rocsparse_index_base_
    .private_segment_fixed_size: 0
    .sgpr_count:     48
    .sgpr_spill_count: 0
    .symbol:         _ZN9rocsparseL18csric0_hash_kernelILj256ELj64ELj16E21rocsparse_complex_numIfEEEviPKiS4_PT2_S4_PiS4_S7_S7_d21rocsparse_index_base_.kd
    .uniform_work_group_size: 1
    .uses_dynamic_stack: false
    .vgpr_count:     38
    .vgpr_spill_count: 0
    .wavefront_size: 64
  - .agpr_count:     0
    .args:
      - .offset:         0
        .size:           4
        .value_kind:     by_value
      - .actual_access:  read_only
        .address_space:  global
        .offset:         8
        .size:           8
        .value_kind:     global_buffer
      - .actual_access:  read_only
        .address_space:  global
        .offset:         16
        .size:           8
        .value_kind:     global_buffer
      - .address_space:  global
        .offset:         24
        .size:           8
        .value_kind:     global_buffer
      - .actual_access:  read_only
        .address_space:  global
        .offset:         32
        .size:           8
        .value_kind:     global_buffer
      - .address_space:  global
        .offset:         40
        .size:           8
        .value_kind:     global_buffer
      - .actual_access:  read_only
        .address_space:  global
        .offset:         48
        .size:           8
        .value_kind:     global_buffer
      - .address_space:  global
        .offset:         56
        .size:           8
        .value_kind:     global_buffer
      - .address_space:  global
        .offset:         64
        .size:           8
        .value_kind:     global_buffer
      - .offset:         72
        .size:           8
        .value_kind:     by_value
      - .offset:         80
        .size:           4
        .value_kind:     by_value
    .group_segment_fixed_size: 0
    .kernarg_segment_align: 8
    .kernarg_segment_size: 84
    .language:       OpenCL C
    .language_version:
      - 2
      - 0
    .max_flat_workgroup_size: 256
    .name:           _ZN9rocsparseL23csric0_binsearch_kernelILj256ELj64ELb0E21rocsparse_complex_numIfEEEviPKiS4_PT2_S4_PiS4_S7_S7_d21rocsparse_index_base_
    .private_segment_fixed_size: 0
    .sgpr_count:     42
    .sgpr_spill_count: 0
    .symbol:         _ZN9rocsparseL23csric0_binsearch_kernelILj256ELj64ELb0E21rocsparse_complex_numIfEEEviPKiS4_PT2_S4_PiS4_S7_S7_d21rocsparse_index_base_.kd
    .uniform_work_group_size: 1
    .uses_dynamic_stack: false
    .vgpr_count:     40
    .vgpr_spill_count: 0
    .wavefront_size: 64
  - .agpr_count:     0
    .args:
      - .offset:         0
        .size:           4
        .value_kind:     by_value
      - .actual_access:  read_only
        .address_space:  global
        .offset:         8
        .size:           8
        .value_kind:     global_buffer
      - .actual_access:  read_only
        .address_space:  global
        .offset:         16
        .size:           8
        .value_kind:     global_buffer
      - .address_space:  global
        .offset:         24
        .size:           8
        .value_kind:     global_buffer
      - .actual_access:  read_only
        .address_space:  global
        .offset:         32
        .size:           8
        .value_kind:     global_buffer
      - .address_space:  global
        .offset:         40
        .size:           8
        .value_kind:     global_buffer
      - .actual_access:  read_only
        .address_space:  global
        .offset:         48
        .size:           8
        .value_kind:     global_buffer
      - .address_space:  global
        .offset:         56
        .size:           8
        .value_kind:     global_buffer
      - .address_space:  global
        .offset:         64
        .size:           8
        .value_kind:     global_buffer
      - .offset:         72
        .size:           8
        .value_kind:     by_value
      - .offset:         80
        .size:           4
        .value_kind:     by_value
    .group_segment_fixed_size: 0
    .kernarg_segment_align: 8
    .kernarg_segment_size: 84
    .language:       OpenCL C
    .language_version:
      - 2
      - 0
    .max_flat_workgroup_size: 256
    .name:           _ZN9rocsparseL23csric0_binsearch_kernelILj256ELj64ELb1E21rocsparse_complex_numIdEEEviPKiS4_PT2_S4_PiS4_S7_S7_d21rocsparse_index_base_
    .private_segment_fixed_size: 0
    .sgpr_count:     42
    .sgpr_spill_count: 0
    .symbol:         _ZN9rocsparseL23csric0_binsearch_kernelILj256ELj64ELb1E21rocsparse_complex_numIdEEEviPKiS4_PT2_S4_PiS4_S7_S7_d21rocsparse_index_base_.kd
    .uniform_work_group_size: 1
    .uses_dynamic_stack: false
    .vgpr_count:     52
    .vgpr_spill_count: 0
    .wavefront_size: 64
  - .agpr_count:     0
    .args:
      - .offset:         0
        .size:           4
        .value_kind:     by_value
      - .actual_access:  read_only
        .address_space:  global
        .offset:         8
        .size:           8
        .value_kind:     global_buffer
      - .actual_access:  read_only
        .address_space:  global
        .offset:         16
        .size:           8
        .value_kind:     global_buffer
      - .address_space:  global
        .offset:         24
        .size:           8
        .value_kind:     global_buffer
      - .actual_access:  read_only
        .address_space:  global
        .offset:         32
        .size:           8
        .value_kind:     global_buffer
      - .address_space:  global
        .offset:         40
        .size:           8
        .value_kind:     global_buffer
      - .actual_access:  read_only
        .address_space:  global
        .offset:         48
        .size:           8
        .value_kind:     global_buffer
      - .address_space:  global
        .offset:         56
        .size:           8
        .value_kind:     global_buffer
      - .address_space:  global
        .offset:         64
        .size:           8
        .value_kind:     global_buffer
      - .offset:         72
        .size:           8
        .value_kind:     by_value
      - .offset:         80
        .size:           4
        .value_kind:     by_value
    .group_segment_fixed_size: 2048
    .kernarg_segment_align: 8
    .kernarg_segment_size: 84
    .language:       OpenCL C
    .language_version:
      - 2
      - 0
    .max_flat_workgroup_size: 256
    .name:           _ZN9rocsparseL18csric0_hash_kernelILj256ELj32ELj1E21rocsparse_complex_numIdEEEviPKiS4_PT2_S4_PiS4_S7_S7_d21rocsparse_index_base_
    .private_segment_fixed_size: 0
    .sgpr_count:     48
    .sgpr_spill_count: 0
    .symbol:         _ZN9rocsparseL18csric0_hash_kernelILj256ELj32ELj1E21rocsparse_complex_numIdEEEviPKiS4_PT2_S4_PiS4_S7_S7_d21rocsparse_index_base_.kd
    .uniform_work_group_size: 1
    .uses_dynamic_stack: false
    .vgpr_count:     50
    .vgpr_spill_count: 0
    .wavefront_size: 64
  - .agpr_count:     0
    .args:
      - .offset:         0
        .size:           4
        .value_kind:     by_value
      - .actual_access:  read_only
        .address_space:  global
        .offset:         8
        .size:           8
        .value_kind:     global_buffer
      - .actual_access:  read_only
        .address_space:  global
        .offset:         16
        .size:           8
        .value_kind:     global_buffer
      - .address_space:  global
        .offset:         24
        .size:           8
        .value_kind:     global_buffer
      - .actual_access:  read_only
        .address_space:  global
        .offset:         32
        .size:           8
        .value_kind:     global_buffer
      - .address_space:  global
        .offset:         40
        .size:           8
        .value_kind:     global_buffer
      - .actual_access:  read_only
        .address_space:  global
        .offset:         48
        .size:           8
        .value_kind:     global_buffer
      - .address_space:  global
        .offset:         56
        .size:           8
        .value_kind:     global_buffer
      - .address_space:  global
        .offset:         64
        .size:           8
        .value_kind:     global_buffer
      - .offset:         72
        .size:           8
        .value_kind:     by_value
      - .offset:         80
        .size:           4
        .value_kind:     by_value
    .group_segment_fixed_size: 4096
    .kernarg_segment_align: 8
    .kernarg_segment_size: 84
    .language:       OpenCL C
    .language_version:
      - 2
      - 0
    .max_flat_workgroup_size: 256
    .name:           _ZN9rocsparseL18csric0_hash_kernelILj256ELj32ELj2E21rocsparse_complex_numIdEEEviPKiS4_PT2_S4_PiS4_S7_S7_d21rocsparse_index_base_
    .private_segment_fixed_size: 0
    .sgpr_count:     48
    .sgpr_spill_count: 0
    .symbol:         _ZN9rocsparseL18csric0_hash_kernelILj256ELj32ELj2E21rocsparse_complex_numIdEEEviPKiS4_PT2_S4_PiS4_S7_S7_d21rocsparse_index_base_.kd
    .uniform_work_group_size: 1
    .uses_dynamic_stack: false
    .vgpr_count:     50
    .vgpr_spill_count: 0
    .wavefront_size: 64
  - .agpr_count:     0
    .args:
      - .offset:         0
        .size:           4
        .value_kind:     by_value
      - .actual_access:  read_only
        .address_space:  global
        .offset:         8
        .size:           8
        .value_kind:     global_buffer
      - .actual_access:  read_only
        .address_space:  global
        .offset:         16
        .size:           8
        .value_kind:     global_buffer
      - .address_space:  global
        .offset:         24
        .size:           8
        .value_kind:     global_buffer
      - .actual_access:  read_only
        .address_space:  global
        .offset:         32
        .size:           8
        .value_kind:     global_buffer
      - .address_space:  global
        .offset:         40
        .size:           8
        .value_kind:     global_buffer
      - .actual_access:  read_only
        .address_space:  global
        .offset:         48
        .size:           8
        .value_kind:     global_buffer
      - .address_space:  global
        .offset:         56
        .size:           8
        .value_kind:     global_buffer
      - .address_space:  global
        .offset:         64
        .size:           8
        .value_kind:     global_buffer
      - .offset:         72
        .size:           8
        .value_kind:     by_value
      - .offset:         80
        .size:           4
        .value_kind:     by_value
    .group_segment_fixed_size: 8192
    .kernarg_segment_align: 8
    .kernarg_segment_size: 84
    .language:       OpenCL C
    .language_version:
      - 2
      - 0
    .max_flat_workgroup_size: 256
    .name:           _ZN9rocsparseL18csric0_hash_kernelILj256ELj32ELj4E21rocsparse_complex_numIdEEEviPKiS4_PT2_S4_PiS4_S7_S7_d21rocsparse_index_base_
    .private_segment_fixed_size: 0
    .sgpr_count:     48
    .sgpr_spill_count: 0
    .symbol:         _ZN9rocsparseL18csric0_hash_kernelILj256ELj32ELj4E21rocsparse_complex_numIdEEEviPKiS4_PT2_S4_PiS4_S7_S7_d21rocsparse_index_base_.kd
    .uniform_work_group_size: 1
    .uses_dynamic_stack: false
    .vgpr_count:     50
    .vgpr_spill_count: 0
    .wavefront_size: 64
  - .agpr_count:     0
    .args:
      - .offset:         0
        .size:           4
        .value_kind:     by_value
      - .actual_access:  read_only
        .address_space:  global
        .offset:         8
        .size:           8
        .value_kind:     global_buffer
      - .actual_access:  read_only
        .address_space:  global
        .offset:         16
        .size:           8
        .value_kind:     global_buffer
      - .address_space:  global
        .offset:         24
        .size:           8
        .value_kind:     global_buffer
      - .actual_access:  read_only
        .address_space:  global
        .offset:         32
        .size:           8
        .value_kind:     global_buffer
      - .address_space:  global
        .offset:         40
        .size:           8
        .value_kind:     global_buffer
      - .actual_access:  read_only
        .address_space:  global
        .offset:         48
        .size:           8
        .value_kind:     global_buffer
      - .address_space:  global
        .offset:         56
        .size:           8
        .value_kind:     global_buffer
      - .address_space:  global
        .offset:         64
        .size:           8
        .value_kind:     global_buffer
      - .offset:         72
        .size:           8
        .value_kind:     by_value
      - .offset:         80
        .size:           4
        .value_kind:     by_value
    .group_segment_fixed_size: 16384
    .kernarg_segment_align: 8
    .kernarg_segment_size: 84
    .language:       OpenCL C
    .language_version:
      - 2
      - 0
    .max_flat_workgroup_size: 256
    .name:           _ZN9rocsparseL18csric0_hash_kernelILj256ELj32ELj8E21rocsparse_complex_numIdEEEviPKiS4_PT2_S4_PiS4_S7_S7_d21rocsparse_index_base_
    .private_segment_fixed_size: 0
    .sgpr_count:     48
    .sgpr_spill_count: 0
    .symbol:         _ZN9rocsparseL18csric0_hash_kernelILj256ELj32ELj8E21rocsparse_complex_numIdEEEviPKiS4_PT2_S4_PiS4_S7_S7_d21rocsparse_index_base_.kd
    .uniform_work_group_size: 1
    .uses_dynamic_stack: false
    .vgpr_count:     50
    .vgpr_spill_count: 0
    .wavefront_size: 64
  - .agpr_count:     0
    .args:
      - .offset:         0
        .size:           4
        .value_kind:     by_value
      - .actual_access:  read_only
        .address_space:  global
        .offset:         8
        .size:           8
        .value_kind:     global_buffer
      - .actual_access:  read_only
        .address_space:  global
        .offset:         16
        .size:           8
        .value_kind:     global_buffer
      - .address_space:  global
        .offset:         24
        .size:           8
        .value_kind:     global_buffer
      - .actual_access:  read_only
        .address_space:  global
        .offset:         32
        .size:           8
        .value_kind:     global_buffer
      - .address_space:  global
        .offset:         40
        .size:           8
        .value_kind:     global_buffer
      - .actual_access:  read_only
        .address_space:  global
        .offset:         48
        .size:           8
        .value_kind:     global_buffer
      - .address_space:  global
        .offset:         56
        .size:           8
        .value_kind:     global_buffer
      - .address_space:  global
        .offset:         64
        .size:           8
        .value_kind:     global_buffer
      - .offset:         72
        .size:           8
        .value_kind:     by_value
      - .offset:         80
        .size:           4
        .value_kind:     by_value
    .group_segment_fixed_size: 32768
    .kernarg_segment_align: 8
    .kernarg_segment_size: 84
    .language:       OpenCL C
    .language_version:
      - 2
      - 0
    .max_flat_workgroup_size: 256
    .name:           _ZN9rocsparseL18csric0_hash_kernelILj256ELj32ELj16E21rocsparse_complex_numIdEEEviPKiS4_PT2_S4_PiS4_S7_S7_d21rocsparse_index_base_
    .private_segment_fixed_size: 0
    .sgpr_count:     48
    .sgpr_spill_count: 0
    .symbol:         _ZN9rocsparseL18csric0_hash_kernelILj256ELj32ELj16E21rocsparse_complex_numIdEEEviPKiS4_PT2_S4_PiS4_S7_S7_d21rocsparse_index_base_.kd
    .uniform_work_group_size: 1
    .uses_dynamic_stack: false
    .vgpr_count:     50
    .vgpr_spill_count: 0
    .wavefront_size: 64
  - .agpr_count:     0
    .args:
      - .offset:         0
        .size:           4
        .value_kind:     by_value
      - .actual_access:  read_only
        .address_space:  global
        .offset:         8
        .size:           8
        .value_kind:     global_buffer
      - .actual_access:  read_only
        .address_space:  global
        .offset:         16
        .size:           8
        .value_kind:     global_buffer
      - .address_space:  global
        .offset:         24
        .size:           8
        .value_kind:     global_buffer
      - .actual_access:  read_only
        .address_space:  global
        .offset:         32
        .size:           8
        .value_kind:     global_buffer
      - .address_space:  global
        .offset:         40
        .size:           8
        .value_kind:     global_buffer
      - .actual_access:  read_only
        .address_space:  global
        .offset:         48
        .size:           8
        .value_kind:     global_buffer
      - .address_space:  global
        .offset:         56
        .size:           8
        .value_kind:     global_buffer
      - .address_space:  global
        .offset:         64
        .size:           8
        .value_kind:     global_buffer
      - .offset:         72
        .size:           8
        .value_kind:     by_value
      - .offset:         80
        .size:           4
        .value_kind:     by_value
    .group_segment_fixed_size: 0
    .kernarg_segment_align: 8
    .kernarg_segment_size: 84
    .language:       OpenCL C
    .language_version:
      - 2
      - 0
    .max_flat_workgroup_size: 256
    .name:           _ZN9rocsparseL23csric0_binsearch_kernelILj256ELj32ELb0E21rocsparse_complex_numIdEEEviPKiS4_PT2_S4_PiS4_S7_S7_d21rocsparse_index_base_
    .private_segment_fixed_size: 0
    .sgpr_count:     42
    .sgpr_spill_count: 0
    .symbol:         _ZN9rocsparseL23csric0_binsearch_kernelILj256ELj32ELb0E21rocsparse_complex_numIdEEEviPKiS4_PT2_S4_PiS4_S7_S7_d21rocsparse_index_base_.kd
    .uniform_work_group_size: 1
    .uses_dynamic_stack: false
    .vgpr_count:     52
    .vgpr_spill_count: 0
    .wavefront_size: 64
  - .agpr_count:     0
    .args:
      - .offset:         0
        .size:           4
        .value_kind:     by_value
      - .actual_access:  read_only
        .address_space:  global
        .offset:         8
        .size:           8
        .value_kind:     global_buffer
      - .actual_access:  read_only
        .address_space:  global
        .offset:         16
        .size:           8
        .value_kind:     global_buffer
      - .address_space:  global
        .offset:         24
        .size:           8
        .value_kind:     global_buffer
      - .actual_access:  read_only
        .address_space:  global
        .offset:         32
        .size:           8
        .value_kind:     global_buffer
      - .address_space:  global
        .offset:         40
        .size:           8
        .value_kind:     global_buffer
      - .actual_access:  read_only
        .address_space:  global
        .offset:         48
        .size:           8
        .value_kind:     global_buffer
      - .address_space:  global
        .offset:         56
        .size:           8
        .value_kind:     global_buffer
      - .address_space:  global
        .offset:         64
        .size:           8
        .value_kind:     global_buffer
      - .offset:         72
        .size:           8
        .value_kind:     by_value
      - .offset:         80
        .size:           4
        .value_kind:     by_value
    .group_segment_fixed_size: 2048
    .kernarg_segment_align: 8
    .kernarg_segment_size: 84
    .language:       OpenCL C
    .language_version:
      - 2
      - 0
    .max_flat_workgroup_size: 256
    .name:           _ZN9rocsparseL18csric0_hash_kernelILj256ELj64ELj1E21rocsparse_complex_numIdEEEviPKiS4_PT2_S4_PiS4_S7_S7_d21rocsparse_index_base_
    .private_segment_fixed_size: 0
    .sgpr_count:     48
    .sgpr_spill_count: 0
    .symbol:         _ZN9rocsparseL18csric0_hash_kernelILj256ELj64ELj1E21rocsparse_complex_numIdEEEviPKiS4_PT2_S4_PiS4_S7_S7_d21rocsparse_index_base_.kd
    .uniform_work_group_size: 1
    .uses_dynamic_stack: false
    .vgpr_count:     50
    .vgpr_spill_count: 0
    .wavefront_size: 64
  - .agpr_count:     0
    .args:
      - .offset:         0
        .size:           4
        .value_kind:     by_value
      - .actual_access:  read_only
        .address_space:  global
        .offset:         8
        .size:           8
        .value_kind:     global_buffer
      - .actual_access:  read_only
        .address_space:  global
        .offset:         16
        .size:           8
        .value_kind:     global_buffer
      - .address_space:  global
        .offset:         24
        .size:           8
        .value_kind:     global_buffer
      - .actual_access:  read_only
        .address_space:  global
        .offset:         32
        .size:           8
        .value_kind:     global_buffer
      - .address_space:  global
        .offset:         40
        .size:           8
        .value_kind:     global_buffer
      - .actual_access:  read_only
        .address_space:  global
        .offset:         48
        .size:           8
        .value_kind:     global_buffer
      - .address_space:  global
        .offset:         56
        .size:           8
        .value_kind:     global_buffer
      - .address_space:  global
        .offset:         64
        .size:           8
        .value_kind:     global_buffer
      - .offset:         72
        .size:           8
        .value_kind:     by_value
      - .offset:         80
        .size:           4
        .value_kind:     by_value
    .group_segment_fixed_size: 4096
    .kernarg_segment_align: 8
    .kernarg_segment_size: 84
    .language:       OpenCL C
    .language_version:
      - 2
      - 0
    .max_flat_workgroup_size: 256
    .name:           _ZN9rocsparseL18csric0_hash_kernelILj256ELj64ELj2E21rocsparse_complex_numIdEEEviPKiS4_PT2_S4_PiS4_S7_S7_d21rocsparse_index_base_
    .private_segment_fixed_size: 0
    .sgpr_count:     48
    .sgpr_spill_count: 0
    .symbol:         _ZN9rocsparseL18csric0_hash_kernelILj256ELj64ELj2E21rocsparse_complex_numIdEEEviPKiS4_PT2_S4_PiS4_S7_S7_d21rocsparse_index_base_.kd
    .uniform_work_group_size: 1
    .uses_dynamic_stack: false
    .vgpr_count:     50
    .vgpr_spill_count: 0
    .wavefront_size: 64
  - .agpr_count:     0
    .args:
      - .offset:         0
        .size:           4
        .value_kind:     by_value
      - .actual_access:  read_only
        .address_space:  global
        .offset:         8
        .size:           8
        .value_kind:     global_buffer
      - .actual_access:  read_only
        .address_space:  global
        .offset:         16
        .size:           8
        .value_kind:     global_buffer
      - .address_space:  global
        .offset:         24
        .size:           8
        .value_kind:     global_buffer
      - .actual_access:  read_only
        .address_space:  global
        .offset:         32
        .size:           8
        .value_kind:     global_buffer
      - .address_space:  global
        .offset:         40
        .size:           8
        .value_kind:     global_buffer
      - .actual_access:  read_only
        .address_space:  global
        .offset:         48
        .size:           8
        .value_kind:     global_buffer
      - .address_space:  global
        .offset:         56
        .size:           8
        .value_kind:     global_buffer
      - .address_space:  global
        .offset:         64
        .size:           8
        .value_kind:     global_buffer
      - .offset:         72
        .size:           8
        .value_kind:     by_value
      - .offset:         80
        .size:           4
        .value_kind:     by_value
    .group_segment_fixed_size: 8192
    .kernarg_segment_align: 8
    .kernarg_segment_size: 84
    .language:       OpenCL C
    .language_version:
      - 2
      - 0
    .max_flat_workgroup_size: 256
    .name:           _ZN9rocsparseL18csric0_hash_kernelILj256ELj64ELj4E21rocsparse_complex_numIdEEEviPKiS4_PT2_S4_PiS4_S7_S7_d21rocsparse_index_base_
    .private_segment_fixed_size: 0
    .sgpr_count:     48
    .sgpr_spill_count: 0
    .symbol:         _ZN9rocsparseL18csric0_hash_kernelILj256ELj64ELj4E21rocsparse_complex_numIdEEEviPKiS4_PT2_S4_PiS4_S7_S7_d21rocsparse_index_base_.kd
    .uniform_work_group_size: 1
    .uses_dynamic_stack: false
    .vgpr_count:     50
    .vgpr_spill_count: 0
    .wavefront_size: 64
  - .agpr_count:     0
    .args:
      - .offset:         0
        .size:           4
        .value_kind:     by_value
      - .actual_access:  read_only
        .address_space:  global
        .offset:         8
        .size:           8
        .value_kind:     global_buffer
      - .actual_access:  read_only
        .address_space:  global
        .offset:         16
        .size:           8
        .value_kind:     global_buffer
      - .address_space:  global
        .offset:         24
        .size:           8
        .value_kind:     global_buffer
      - .actual_access:  read_only
        .address_space:  global
        .offset:         32
        .size:           8
        .value_kind:     global_buffer
      - .address_space:  global
        .offset:         40
        .size:           8
        .value_kind:     global_buffer
      - .actual_access:  read_only
        .address_space:  global
        .offset:         48
        .size:           8
        .value_kind:     global_buffer
      - .address_space:  global
        .offset:         56
        .size:           8
        .value_kind:     global_buffer
      - .address_space:  global
        .offset:         64
        .size:           8
        .value_kind:     global_buffer
      - .offset:         72
        .size:           8
        .value_kind:     by_value
      - .offset:         80
        .size:           4
        .value_kind:     by_value
    .group_segment_fixed_size: 16384
    .kernarg_segment_align: 8
    .kernarg_segment_size: 84
    .language:       OpenCL C
    .language_version:
      - 2
      - 0
    .max_flat_workgroup_size: 256
    .name:           _ZN9rocsparseL18csric0_hash_kernelILj256ELj64ELj8E21rocsparse_complex_numIdEEEviPKiS4_PT2_S4_PiS4_S7_S7_d21rocsparse_index_base_
    .private_segment_fixed_size: 0
    .sgpr_count:     48
    .sgpr_spill_count: 0
    .symbol:         _ZN9rocsparseL18csric0_hash_kernelILj256ELj64ELj8E21rocsparse_complex_numIdEEEviPKiS4_PT2_S4_PiS4_S7_S7_d21rocsparse_index_base_.kd
    .uniform_work_group_size: 1
    .uses_dynamic_stack: false
    .vgpr_count:     50
    .vgpr_spill_count: 0
    .wavefront_size: 64
  - .agpr_count:     0
    .args:
      - .offset:         0
        .size:           4
        .value_kind:     by_value
      - .actual_access:  read_only
        .address_space:  global
        .offset:         8
        .size:           8
        .value_kind:     global_buffer
      - .actual_access:  read_only
        .address_space:  global
        .offset:         16
        .size:           8
        .value_kind:     global_buffer
      - .address_space:  global
        .offset:         24
        .size:           8
        .value_kind:     global_buffer
      - .actual_access:  read_only
        .address_space:  global
        .offset:         32
        .size:           8
        .value_kind:     global_buffer
      - .address_space:  global
        .offset:         40
        .size:           8
        .value_kind:     global_buffer
      - .actual_access:  read_only
        .address_space:  global
        .offset:         48
        .size:           8
        .value_kind:     global_buffer
      - .address_space:  global
        .offset:         56
        .size:           8
        .value_kind:     global_buffer
      - .address_space:  global
        .offset:         64
        .size:           8
        .value_kind:     global_buffer
      - .offset:         72
        .size:           8
        .value_kind:     by_value
      - .offset:         80
        .size:           4
        .value_kind:     by_value
    .group_segment_fixed_size: 32768
    .kernarg_segment_align: 8
    .kernarg_segment_size: 84
    .language:       OpenCL C
    .language_version:
      - 2
      - 0
    .max_flat_workgroup_size: 256
    .name:           _ZN9rocsparseL18csric0_hash_kernelILj256ELj64ELj16E21rocsparse_complex_numIdEEEviPKiS4_PT2_S4_PiS4_S7_S7_d21rocsparse_index_base_
    .private_segment_fixed_size: 0
    .sgpr_count:     48
    .sgpr_spill_count: 0
    .symbol:         _ZN9rocsparseL18csric0_hash_kernelILj256ELj64ELj16E21rocsparse_complex_numIdEEEviPKiS4_PT2_S4_PiS4_S7_S7_d21rocsparse_index_base_.kd
    .uniform_work_group_size: 1
    .uses_dynamic_stack: false
    .vgpr_count:     50
    .vgpr_spill_count: 0
    .wavefront_size: 64
  - .agpr_count:     0
    .args:
      - .offset:         0
        .size:           4
        .value_kind:     by_value
      - .actual_access:  read_only
        .address_space:  global
        .offset:         8
        .size:           8
        .value_kind:     global_buffer
      - .actual_access:  read_only
        .address_space:  global
        .offset:         16
        .size:           8
        .value_kind:     global_buffer
      - .address_space:  global
        .offset:         24
        .size:           8
        .value_kind:     global_buffer
      - .actual_access:  read_only
        .address_space:  global
        .offset:         32
        .size:           8
        .value_kind:     global_buffer
      - .address_space:  global
        .offset:         40
        .size:           8
        .value_kind:     global_buffer
      - .actual_access:  read_only
        .address_space:  global
        .offset:         48
        .size:           8
        .value_kind:     global_buffer
      - .address_space:  global
        .offset:         56
        .size:           8
        .value_kind:     global_buffer
      - .address_space:  global
        .offset:         64
        .size:           8
        .value_kind:     global_buffer
      - .offset:         72
        .size:           8
        .value_kind:     by_value
      - .offset:         80
        .size:           4
        .value_kind:     by_value
    .group_segment_fixed_size: 0
    .kernarg_segment_align: 8
    .kernarg_segment_size: 84
    .language:       OpenCL C
    .language_version:
      - 2
      - 0
    .max_flat_workgroup_size: 256
    .name:           _ZN9rocsparseL23csric0_binsearch_kernelILj256ELj64ELb0E21rocsparse_complex_numIdEEEviPKiS4_PT2_S4_PiS4_S7_S7_d21rocsparse_index_base_
    .private_segment_fixed_size: 0
    .sgpr_count:     42
    .sgpr_spill_count: 0
    .symbol:         _ZN9rocsparseL23csric0_binsearch_kernelILj256ELj64ELb0E21rocsparse_complex_numIdEEEviPKiS4_PT2_S4_PiS4_S7_S7_d21rocsparse_index_base_.kd
    .uniform_work_group_size: 1
    .uses_dynamic_stack: false
    .vgpr_count:     52
    .vgpr_spill_count: 0
    .wavefront_size: 64
amdhsa.target:   amdgcn-amd-amdhsa--gfx90a
amdhsa.version:
  - 1
  - 2
...

	.end_amdgpu_metadata
